;; amdgpu-corpus repo=ROCm/aiter kind=harvested arch=n/a opt=n/a

/root/src/amdgpu-assembly/repos/ROCm__aiter/hsa/gfx942/fmoe/gelu/fmoe_int8_g1u1_subGU_320_gelu.co:	file format elf64-amdgpu

Disassembly of section .text:

0000000000002b00 <fmoe_int8_g1u1_subGU_320_gelu>:
	s_and_b32 s1, s1, 0xffff                                   // 000000002B00: 8601FF01 0000FFFF
	s_load_dwordx2 s[8:9], s[0:1], 0x0                         // 000000002B08: C0060200 00000000
	s_load_dwordx2 s[20:21], s[0:1], 0x10                      // 000000002B10: C0060500 00000010
	s_load_dwordx2 s[24:25], s[0:1], 0x20                      // 000000002B18: C0060600 00000020
	s_load_dwordx2 s[50:51], s[0:1], 0x30                      // 000000002B20: C0060C80 00000030
	s_load_dwordx2 s[12:13], s[0:1], 0x40                      // 000000002B28: C0060300 00000040
	s_load_dwordx2 s[28:29], s[0:1], 0x50                      // 000000002B30: C0060700 00000050
	s_load_dwordx2 s[32:33], s[0:1], 0x60                      // 000000002B38: C0060800 00000060
	s_load_dwordx2 s[16:17], s[0:1], 0x70                      // 000000002B40: C0060400 00000070
	s_load_dwordx2 s[36:37], s[0:1], 0x80                      // 000000002B48: C0060900 00000080
	s_load_dwordx2 s[44:45], s[0:1], 0x90                      // 000000002B50: C0060B00 00000090
	s_load_dwordx2 s[40:41], s[0:1], 0xa0                      // 000000002B58: C0060A00 000000A0
	s_load_dwordx2 s[46:47], s[0:1], 0xb0                      // 000000002B60: C0060B80 000000B0
	s_load_dword s64, s[0:1], 0xc0                             // 000000002B68: C0021000 000000C0
	s_load_dword s65, s[0:1], 0xd0                             // 000000002B70: C0021040 000000D0
	s_load_dword s66, s[0:1], 0xe0                             // 000000002B78: C0021080 000000E0
	s_load_dword s67, s[0:1], 0xf0                             // 000000002B80: C00210C0 000000F0
	s_load_dword s68, s[0:1], 0x100                            // 000000002B88: C0021100 00000100
	s_load_dword s69, s[0:1], 0x110                            // 000000002B90: C0021140 00000110
	s_load_dword s70, s[0:1], 0x120                            // 000000002B98: C0021180 00000120
	s_load_dword s71, s[0:1], 0x130                            // 000000002BA0: C00211C0 00000130
	s_load_dword s72, s[0:1], 0x140                            // 000000002BA8: C0021200 00000140
	s_load_dword s73, s[0:1], 0x150                            // 000000002BB0: C0021240 00000150
	s_load_dword s74, s[0:1], 0x160                            // 000000002BB8: C0021280 00000160
	s_load_dword s75, s[0:1], 0x170                            // 000000002BC0: C00212C0 00000170
	s_load_dword s76, s[0:1], 0x180                            // 000000002BC8: C0021300 00000180
	v_lshrrev_b32_e32 v1, 10, v0                               // 000000002BD0: 2002008A
	v_lshrrev_b32_e32 v2, 10, v1                               // 000000002BD4: 2004028A
	v_and_b32_e32 v2, 0x3ff, v2                                // 000000002BD8: 260404FF 000003FF
	v_and_b32_e32 v1, 0x3ff, v1                                // 000000002BE0: 260202FF 000003FF
	v_and_b32_e32 v0, 0x3ff, v0                                // 000000002BE8: 260000FF 000003FF
	v_lshrrev_b32_e32 v3, 6, v0                                // 000000002BF0: 20060086
	v_and_b32_e32 v0, 63, v0                                   // 000000002BF4: 260000BF
	s_mov_b32 s2, s2                                           // 000000002BF8: BE820002
	s_mov_b32 s3, s3                                           // 000000002BFC: BE830003
	s_mov_b32 s4, s4                                           // 000000002C00: BE840004
	v_readfirstlane_b32 s7, v3                                 // 000000002C04: 7E0E0503
	s_waitcnt lgkmcnt(0)                                       // 000000002C08: BF8CC07F
	s_and_b32 s51, s51, 0xffff                                 // 000000002C0C: 8633FF33 0000FFFF
	s_load_dword s50, s[50:51], 0x0                            // 000000002C14: C0020C99 00000000
	s_and_b32 s45, s45, 0xffff                                 // 000000002C1C: 862DFF2D 0000FFFF
	s_and_b32 s47, s47, 0xffff                                 // 000000002C24: 862FFF2F 0000FFFF
	s_and_b32 s9, s9, 0xffff                                   // 000000002C2C: 8609FF09 0000FFFF
	s_mul_i32 s60, s66, s68                                    // 000000002C34: 923C4442
	s_mul_i32 s61, s66, 4                                      // 000000002C38: 923D8442
	s_mov_b32 s22, s60                                         // 000000002C3C: BE96003C
	s_mov_b32 s26, 0x80000000                                  // 000000002C40: BE9A00FF 80000000
	s_mov_b32 s14, 0x80000000                                  // 000000002C48: BE8E00FF 80000000
	s_mov_b32 s42, 0x80000000                                  // 000000002C50: BEAA00FF 80000000
	s_mov_b32 s30, s61                                         // 000000002C58: BE9E003D
	s_mov_b32 s34, 0x500                                       // 000000002C5C: BEA200FF 00000500
	s_mov_b32 s38, 0x500                                       // 000000002C64: BEA600FF 00000500
	s_mov_b32 s18, 0x80000000                                  // 000000002C6C: BE9200FF 80000000
	s_mov_b32 s23, 0x20000                                     // 000000002C74: BE9700FF 00020000
	s_mov_b32 s27, 0x20000                                     // 000000002C7C: BE9B00FF 00020000
	s_mov_b32 s15, 0x20000                                     // 000000002C84: BE8F00FF 00020000
	s_mov_b32 s43, 0x20000                                     // 000000002C8C: BEAB00FF 00020000
	s_mov_b32 s31, 0x20000                                     // 000000002C94: BE9F00FF 00020000
	s_mov_b32 s35, 0x20000                                     // 000000002C9C: BEA300FF 00020000
	s_mov_b32 s39, 0x20000                                     // 000000002CA4: BEA700FF 00020000
	s_mov_b32 s19, 0x20000                                     // 000000002CAC: BE9300FF 00020000
	s_and_b32 s21, s21, 0xffff                                 // 000000002CB4: 8615FF15 0000FFFF
	s_and_b32 s25, s25, 0xffff                                 // 000000002CBC: 8619FF19 0000FFFF
	s_and_b32 s13, s13, 0xffff                                 // 000000002CC4: 860DFF0D 0000FFFF
	s_and_b32 s41, s41, 0xffff                                 // 000000002CCC: 8629FF29 0000FFFF
	s_and_b32 s29, s29, 0xffff                                 // 000000002CD4: 861DFF1D 0000FFFF
	s_and_b32 s33, s33, 0xffff                                 // 000000002CDC: 8621FF21 0000FFFF
	s_and_b32 s37, s37, 0xffff                                 // 000000002CE4: 8625FF25 0000FFFF
	s_and_b32 s17, s17, 0xffff                                 // 000000002CEC: 8611FF11 0000FFFF
	s_or_b32 s21, s21, 0x40000                                 // 000000002CF4: 8715FF15 00040000
	s_or_b32 s25, s25, 0x40000                                 // 000000002CFC: 8719FF19 00040000
	s_or_b32 s13, s13, 0x40000                                 // 000000002D04: 870DFF0D 00040000
	s_or_b32 s41, s41, 0x40000                                 // 000000002D0C: 8729FF29 00040000
	s_or_b32 s29, s29, 0x40000                                 // 000000002D14: 871DFF1D 00040000
	s_or_b32 s33, s33, 0x40000                                 // 000000002D1C: 8721FF21 00040000
	s_or_b32 s37, s37, 0x40000                                 // 000000002D24: 8725FF25 00040000
	s_or_b32 s17, s17, 0x40000                                 // 000000002D2C: 8711FF11 00040000
	v_accvgpr_write_b32 a159, 0                                // 000000002D34: D3D9409F 18000080
	v_mov_b32_e32 v231, 0                                      // 000000002D3C: 7FCE0280
	s_waitcnt lgkmcnt(0)                                       // 000000002D40: BF8CC07F
	s_mul_i32 s60, s3, 32                                      // 000000002D44: 923CA003
	s_cmp_lt_i32 s60, s50                                      // 000000002D48: BF04323C
	s_cbranch_scc0 label_1F0E                                  // 000000002D4C: BF841E7A
	s_mov_b32 s80, 0                                           // 000000002D50: BED00080
	s_mov_b32 s81, s64                                         // 000000002D54: BED10040
	s_mul_i32 s60, s3, 4                                       // 000000002D58: 923C8403
	s_add_u32 s46, s60, s46                                    // 000000002D5C: 802E2E3C
	s_addc_u32 s47, 0, s47                                     // 000000002D60: 822F2F80
	s_load_dword s5, s[46:47], 0x0                             // 000000002D64: C0020157 00000000
	s_mul_i32 s60, s3, 32                                      // 000000002D6C: 923CA003
	s_mul_i32 s60, 4, s60                                      // 000000002D70: 923C3C84
	v_and_b32_e32 v50, 15, v0                                  // 000000002D74: 2664008F
	v_lshlrev_b32_e32 v50, 2, v50                              // 000000002D78: 24646482
	v_add_u32_e32 v50, s60, v50                                // 000000002D7C: 6864643C
	v_mov_b32_e32 v51, 0                                       // 000000002D80: 7E660280
	global_load_dword v6, v50, s[44:45]                        // 000000002D84: DC508000 062C0032
	v_add_u32_e32 v50, 64, v50                                 // 000000002D8C: 686464C0
	global_load_dword v7, v50, s[44:45]                        // 000000002D90: DC508000 072C0032
	s_mul_i32 s60, s3, 32                                      // 000000002D98: 923CA003
	s_add_u32 s60, s7, s60                                     // 000000002D9C: 803C3C07
	s_mul_i32 s60, 4, s60                                      // 000000002DA0: 923C3C84
	s_add_u32 s44, s60, s44                                    // 000000002DA4: 802C2C3C
	s_addc_u32 s45, 0, s45                                     // 000000002DA8: 822D2D80
	s_load_dword s82, s[44:45], 0x0                            // 000000002DAC: C0021496 00000000
	s_load_dword s83, s[44:45], 0x10                           // 000000002DB4: C00214D6 00000010
	s_load_dword s84, s[44:45], 0x20                           // 000000002DBC: C0021516 00000020
	s_load_dword s85, s[44:45], 0x30                           // 000000002DC4: C0021556 00000030
	s_load_dword s86, s[44:45], 0x40                           // 000000002DCC: C0021596 00000040
	s_load_dword s87, s[44:45], 0x50                           // 000000002DD4: C00215D6 00000050
	s_load_dword s88, s[44:45], 0x60                           // 000000002DDC: C0021616 00000060
	s_load_dword s89, s[44:45], 0x70                           // 000000002DE4: C0021656 00000070
	s_waitcnt lgkmcnt(0)                                       // 000000002DEC: BF8CC07F
	v_lshlrev_b32_e32 v50, 2, v0                               // 000000002DF0: 24640082
	s_and_b32 s82, s82, 0xffffff                               // 000000002DF4: 8652FF52 00FFFFFF
	s_mul_i32 s60, s82, s68                                    // 000000002DFC: 923C4452
	v_add_u32_e64 v26, v50, s60                                // 000000002E00: D134001A 00007932
	s_and_b32 s83, s83, 0xffffff                               // 000000002E08: 8653FF53 00FFFFFF
	s_mul_i32 s60, s83, s68                                    // 000000002E10: 923C4453
	v_add_u32_e64 v27, v50, s60                                // 000000002E14: D134001B 00007932
	s_and_b32 s84, s84, 0xffffff                               // 000000002E1C: 8654FF54 00FFFFFF
	s_mul_i32 s60, s84, s68                                    // 000000002E24: 923C4454
	v_add_u32_e64 v28, v50, s60                                // 000000002E28: D134001C 00007932
	s_and_b32 s85, s85, 0xffffff                               // 000000002E30: 8655FF55 00FFFFFF
	s_mul_i32 s60, s85, s68                                    // 000000002E38: 923C4455
	v_add_u32_e64 v29, v50, s60                                // 000000002E3C: D134001D 00007932
	s_and_b32 s86, s86, 0xffffff                               // 000000002E44: 8656FF56 00FFFFFF
	s_mul_i32 s60, s86, s68                                    // 000000002E4C: 923C4456
	v_add_u32_e64 v30, v50, s60                                // 000000002E50: D134001E 00007932
	s_and_b32 s87, s87, 0xffffff                               // 000000002E58: 8657FF57 00FFFFFF
	s_mul_i32 s60, s87, s68                                    // 000000002E60: 923C4457
	v_add_u32_e64 v31, v50, s60                                // 000000002E64: D134001F 00007932
	s_and_b32 s88, s88, 0xffffff                               // 000000002E6C: 8658FF58 00FFFFFF
	s_mul_i32 s60, s88, s68                                    // 000000002E74: 923C4458
	v_add_u32_e64 v32, v50, s60                                // 000000002E78: D1340020 00007932
	s_and_b32 s89, s89, 0xffffff                               // 000000002E80: 8659FF59 00FFFFFF
	s_mul_i32 s60, s89, s68                                    // 000000002E88: 923C4459
	v_add_u32_e64 v33, v50, s60                                // 000000002E8C: D1340021 00007932
	v_lshlrev_b32_e32 v50, 2, v0                               // 000000002E94: 24640082
	s_mul_i32 s60, s82, s71                                    // 000000002E98: 923C4752
	v_add_u32_e64 v80, v50, s60                                // 000000002E9C: D1340050 00007932
	v_mov_b32_e32 v81, 0                                       // 000000002EA4: 7EA20280
	s_mul_i32 s60, s83, s71                                    // 000000002EA8: 923C4753
	v_add_u32_e64 v82, v50, s60                                // 000000002EAC: D1340052 00007932
	v_mov_b32_e32 v83, 0                                       // 000000002EB4: 7EA60280
	s_mul_i32 s60, s84, s71                                    // 000000002EB8: 923C4754
	v_add_u32_e64 v84, v50, s60                                // 000000002EBC: D1340054 00007932
	v_mov_b32_e32 v85, 0                                       // 000000002EC4: 7EAA0280
	s_mul_i32 s60, s85, s71                                    // 000000002EC8: 923C4755
	v_add_u32_e64 v86, v50, s60                                // 000000002ECC: D1340056 00007932
	v_mov_b32_e32 v87, 0                                       // 000000002ED4: 7EAE0280
	s_mul_i32 s60, s86, s71                                    // 000000002ED8: 923C4756
	v_add_u32_e64 v88, v50, s60                                // 000000002EDC: D1340058 00007932
	v_mov_b32_e32 v89, 0                                       // 000000002EE4: 7EB20280
	s_mul_i32 s60, s87, s71                                    // 000000002EE8: 923C4757
	v_add_u32_e64 v90, v50, s60                                // 000000002EEC: D134005A 00007932
	v_mov_b32_e32 v91, 0                                       // 000000002EF4: 7EB60280
	s_mul_i32 s60, s88, s71                                    // 000000002EF8: 923C4758
	v_add_u32_e64 v92, v50, s60                                // 000000002EFC: D134005C 00007932
	v_mov_b32_e32 v93, 0                                       // 000000002F04: 7EBA0280
	s_mul_i32 s60, s89, s71                                    // 000000002F08: 923C4759
	v_add_u32_e64 v94, v50, s60                                // 000000002F0C: D134005E 00007932
	v_mov_b32_e32 v95, 0                                       // 000000002F14: 7EBE0280
	s_mul_i32 s60, s7, 0x820                                   // 000000002F18: 923CFF07 00000820
	s_add_u32 s50, 0, s60                                      // 000000002F20: 80323C80
	s_add_u32 s51, 0x2080, s50                                 // 000000002F24: 803332FF 00002080
	v_lshrrev_b32_e32 v50, 4, v0                               // 000000002F2C: 20640084
	v_lshlrev_b32_e32 v51, 2, v50                              // 000000002F30: 24666482
	v_and_b32_e32 v50, 15, v0                                  // 000000002F34: 2664008F
	v_lshrrev_b32_e32 v52, 2, v50                              // 000000002F38: 20686482
	v_lshlrev_b32_e32 v52, 6, v52                              // 000000002F3C: 24686886
	v_add_u32_e32 v51, v52, v51                                // 000000002F40: 68666734
	v_and_b32_e32 v50, 3, v0                                   // 000000002F44: 26640083
	v_mul_i32_i24_e32 v52, 0x208, v50                          // 000000002F48: 0C6864FF 00000208
	v_add_u32_e32 v51, v52, v51                                // 000000002F50: 68666734
	v_lshlrev_b32_e32 v2, 2, v51                               // 000000002F54: 24046682
	s_mul_i32 s60, s2, 0x140                                   // 000000002F58: 923CFF02 00000140
	s_mul_i32 s60, s60, s69                                    // 000000002F60: 923C453C
	s_mul_i32 s61, s5, s72                                     // 000000002F64: 923D4805
	s_add_u32 s60, s61, s60                                    // 000000002F68: 803C3C3D
	s_add_u32 s24, s60, s24                                    // 000000002F6C: 8018183C
	s_addc_u32 s25, 0, s25                                     // 000000002F70: 82191980
	s_mul_i32 s60, s7, 16                                      // 000000002F74: 923C9007
	s_mul_i32 s60, s60, s69                                    // 000000002F78: 923C453C
	v_lshlrev_b32_e32 v34, 4, v0                               // 000000002F7C: 24440084
	v_add_u32_e32 v34, s60, v34                                // 000000002F80: 6844443C
	s_mul_i32 s60, 64, s69                                     // 000000002F84: 923C45C0
	v_add_u32_e32 v35, s60, v34                                // 000000002F88: 6846443C
	v_add_u32_e32 v36, s60, v35                                // 000000002F8C: 6848463C
	v_add_u32_e32 v37, s60, v36                                // 000000002F90: 684A483C
	v_add_u32_e32 v38, s60, v37                                // 000000002F94: 684C4A3C
	s_mov_b32 s92, s24                                         // 000000002F98: BEDC0018
	s_mov_b32 s93, s25                                         // 000000002F9C: BEDD0019
	s_mov_b32 s94, s26                                         // 000000002FA0: BEDE001A
	s_mov_b32 s95, s27                                         // 000000002FA4: BEDF001B
	s_mul_i32 s60, s69, s65                                    // 000000002FA8: 923C4145
	s_add_u32 s92, s60, s92                                    // 000000002FAC: 805C5C3C
	s_addc_u32 s93, 0, s93                                     // 000000002FB0: 825D5D80
	s_mul_i32 s60, s2, 0x1400                                  // 000000002FB4: 923CFF02 00001400
	s_mul_i32 s61, s5, s73                                     // 000000002FBC: 923D4905
	s_add_u32 s60, s61, s60                                    // 000000002FC0: 803C3C3D
	s_add_u32 s12, s60, s12                                    // 000000002FC4: 800C0C3C
	s_addc_u32 s13, 0, s13                                     // 000000002FC8: 820D0D80
	s_mul_i32 s60, s7, 16                                      // 000000002FCC: 923C9007
	s_mul_i32 s60, s60, s70                                    // 000000002FD0: 923C463C
	v_lshlrev_b32_e32 v39, 4, v0                               // 000000002FD4: 244E0084
	v_add_u32_e32 v39, s60, v39                                // 000000002FD8: 684E4E3C
	s_mul_i32 s60, 64, s70                                     // 000000002FDC: 923C46C0
	v_add_u32_e32 v40, s60, v39                                // 000000002FE0: 68504E3C
	v_add_u32_e32 v41, s60, v40                                // 000000002FE4: 6852503C
	v_add_u32_e32 v42, s60, v41                                // 000000002FE8: 6854523C
	s_mul_i32 s60, s70, 0x100                                  // 000000002FEC: 923CFF46 00000100
	s_mov_b32 s78, 0x400                                       // 000000002FF4: BECE00FF 00000400
	s_mul_i32 s61, s78, 4                                      // 000000002FFC: 923D844E
	s_sub_u32 s56, s60, s61                                    // 000000003000: 80B83D3C
	s_mul_i32 s60, s3, 32                                      // 000000003004: 923CA003
	s_mul_i32 s60, 4, s60                                      // 000000003008: 923C3C84
	s_add_u32 s40, s60, s40                                    // 00000000300C: 8028283C
	s_addc_u32 s41, 0, s41                                     // 000000003010: 82292980
	v_and_b32_e32 v50, 15, v0                                  // 000000003014: 2664008F
	v_lshlrev_b32_e32 v8, 2, v50                               // 000000003018: 24106482
	v_add_u32_e32 v9, 64, v8                                   // 00000000301C: 681210C0
	v_lshrrev_b32_e32 v50, 4, v0                               // 000000003020: 20640084
	v_lshlrev_b32_e32 v51, 2, v50                              // 000000003024: 24666482
	v_and_b32_e32 v50, 15, v0                                  // 000000003028: 2664008F
	v_lshrrev_b32_e32 v52, 2, v50                              // 00000000302C: 20686482
	v_lshlrev_b32_e32 v52, 6, v52                              // 000000003030: 24686886
	v_add_u32_e32 v51, v52, v51                                // 000000003034: 68666734
	v_and_b32_e32 v50, 3, v0                                   // 000000003038: 26640083
	v_add_u32_e32 v51, v50, v51                                // 00000000303C: 68666732
	v_lshlrev_b32_e32 v10, 2, v51                              // 000000003040: 24146682
	v_add_u32_e32 v11, 0x400, v10                              // 000000003044: 681614FF 00000400
	s_mul_i32 s60, s7, 16                                      // 00000000304C: 923C9007
	s_mul_i32 s60, s60, 4                                      // 000000003050: 923C843C
	v_add_u32_e32 v10, s60, v10                                // 000000003054: 6814143C
	v_add_u32_e32 v11, s60, v11                                // 000000003058: 6816163C
	v_mov_b32_e32 v5, v10                                      // 00000000305C: 7E0A030A
	s_mul_i32 s60, s2, 0x140                                   // 000000003060: 923CFF02 00000140
	s_mul_i32 s60, s60, 4                                      // 000000003068: 923C843C
	s_mul_i32 s61, s5, s74                                     // 00000000306C: 923D4A05
	s_add_u32 s61, s61, s60                                    // 000000003070: 803D3C3D
	s_mul_i32 s62, s5, s76                                     // 000000003074: 923E4C05
	s_add_u32 s62, s62, s60                                    // 000000003078: 803E3C3E
	s_add_u32 s32, s61, s32                                    // 00000000307C: 8020203D
	s_addc_u32 s33, 0, s33                                     // 000000003080: 82212180
	s_add_u32 s36, s62, s36                                    // 000000003084: 8024243E
	s_addc_u32 s37, 0, s37                                     // 000000003088: 82252580
	s_mul_i32 s60, s5, s75                                     // 00000000308C: 923C4B05
	s_add_u32 s16, s60, s16                                    // 000000003090: 8010103C
	s_addc_u32 s17, 0, s17                                     // 000000003094: 82111180
	s_mov_b32 s57, 0x100                                       // 000000003098: BEB900FF 00000100
	s_mov_b32 s58, 0x1000                                      // 0000000030A0: BEBA00FF 00001000
	s_mov_b32 s79, 0x400                                       // 0000000030A8: BECF00FF 00000400
	s_mov_b32 s59, 0x200                                       // 0000000030B0: BEBB00FF 00000200
	s_mov_b32 s90, s58                                         // 0000000030B8: BEDA003A
	s_mov_b32 s52, 0x7060302                                   // 0000000030BC: BEB400FF 07060302
	s_mov_b32 s53, 0x400                                       // 0000000030C4: BEB500FF 00000400
	s_mov_b32 s54, 0x40100                                     // 0000000030CC: BEB600FF 00040100
	s_mov_b32 s55, 0x4020100                                   // 0000000030D4: BEB700FF 04020100
	s_mov_b32 s6, 0x3fb8aa3b                                   // 0000000030DC: BE8600FF 3FB8AA3B
	s_mov_b32 s77, 0xbd92220c                                  // 0000000030E4: BECD00FF BD92220C
	s_mov_b32 m0, s50                                          // 0000000030EC: BEFC0032
	v_mov_b32_e32 v1, 0xbfcc4231                               // 0000000030F0: 7E0202FF BFCC4231
	v_mov_b32_e32 v44, 0xffff0000                              // 0000000030F8: 7E5802FF FFFF0000
	v_mov_b32_e32 v45, 0x7fff0000                              // 000000003100: 7E5A02FF 7FFF0000
	v_mov_b32_e32 v46, 0x7fff                                  // 000000003108: 7E5C02FF 00007FFF
	s_waitcnt vmcnt(0) expcnt(0) lgkmcnt(0)                    // 000000003110: BF8C0000
	v_and_b32_e32 v6, 0xffffff, v6                             // 000000003114: 260C0CFF 00FFFFFF
	v_and_b32_e32 v7, 0xffffff, v7                             // 00000000311C: 260E0EFF 00FFFFFF
	v_lshlrev_b32_e32 v6, 2, v6                                // 000000003124: 240C0C82
	v_lshlrev_b32_e32 v7, 2, v7                                // 000000003128: 240E0E82
	buffer_load_dword v14, v6, s[28:31], 0 offen               // 00000000312C: E0501000 80070E06
	buffer_load_dword v15, v7, s[28:31], 0 offen               // 000000003134: E0501000 80070F07
	buffer_load_dword v16, v10, s[32:35], 0 offen              // 00000000313C: E0501000 8008100A
	buffer_load_dword v17, v11, s[32:35], 0 offen              // 000000003144: E0501000 8008110B
	s_mul_i32 s60, 4, s65                                      // 00000000314C: 923C4184
	s_add_u32 s32, s60, s32                                    // 000000003150: 8020203C
	s_addc_u32 s33, 0, s33                                     // 000000003154: 82212180
	buffer_load_dword v47, v10, s[32:35], 0 offen              // 000000003158: E0501000 80082F0A
	buffer_load_dword v48, v11, s[32:35], 0 offen              // 000000003160: E0501000 8008300B
	buffer_load_dword v20, v8, s[40:43], 0 offen               // 000000003168: E0501000 800A1408
	buffer_load_dword v21, v9, s[40:43], 0 offen               // 000000003170: E0501000 800A1509
	buffer_load_dword v26, s[20:23], 0 offen lds               // 000000003178: E0511000 8005001A
	s_add_u32 m0, 0x100, s50                                   // 000000003180: 807C32FF 00000100
	buffer_load_dword v27, s[20:23], 0 offen lds               // 000000003188: E0511000 8005001B
	s_add_u32 m0, 0x200, s50                                   // 000000003190: 807C32FF 00000200
	buffer_load_dword v28, s[20:23], 0 offen lds               // 000000003198: E0511000 8005001C
	s_add_u32 m0, 0x300, s50                                   // 0000000031A0: 807C32FF 00000300
	buffer_load_dword v29, s[20:23], 0 offen lds               // 0000000031A8: E0511000 8005001D
	s_add_u32 m0, 0x400, s50                                   // 0000000031B0: 807C32FF 00000400
	buffer_load_dword v30, s[20:23], 0 offen lds               // 0000000031B8: E0511000 8005001E
	s_add_u32 m0, 0x500, s50                                   // 0000000031C0: 807C32FF 00000500
	buffer_load_dword v31, s[20:23], 0 offen lds               // 0000000031C8: E0511000 8005001F
	s_add_u32 m0, 0x600, s50                                   // 0000000031D0: 807C32FF 00000600
	buffer_load_dword v32, s[20:23], 0 offen lds               // 0000000031D8: E0511000 80050020
	s_add_u32 m0, 0x700, s50                                   // 0000000031E0: 807C32FF 00000700
	buffer_load_dword v33, s[20:23], 0 offen lds               // 0000000031E8: E0511000 80050021
	s_add_u32 m0, 0, s51                                       // 0000000031F0: 807C3380
	s_add_u32 s20, s57, s20                                    // 0000000031F4: 80141439
	s_addc_u32 s21, 0, s21                                     // 0000000031F8: 82151580
	buffer_load_dwordx4 a[0:3], v34, s[24:27], 0 offen         // 0000000031FC: E05C1000 80860022
	buffer_load_dwordx4 a[4:7], v34, s[24:27], 0 offen offset:1024// 000000003204: E05C1400 80860422
	buffer_load_dwordx4 a[8:11], v34, s[24:27], 0 offen offset:2048// 00000000320C: E05C1800 80860822
	buffer_load_dwordx4 a[12:15], v34, s[24:27], 0 offen offset:3072// 000000003214: E05C1C00 80860C22
	buffer_load_dwordx4 a[16:19], v35, s[24:27], 0 offen       // 00000000321C: E05C1000 80861023
	buffer_load_dwordx4 a[20:23], v35, s[24:27], 0 offen offset:1024// 000000003224: E05C1400 80861423
	buffer_load_dwordx4 a[24:27], v35, s[24:27], 0 offen offset:2048// 00000000322C: E05C1800 80861823
	buffer_load_dwordx4 a[28:31], v35, s[24:27], 0 offen offset:3072// 000000003234: E05C1C00 80861C23
	buffer_load_dwordx4 a[32:35], v36, s[24:27], 0 offen       // 00000000323C: E05C1000 80862024
	buffer_load_dwordx4 a[36:39], v36, s[24:27], 0 offen offset:1024// 000000003244: E05C1400 80862424
	buffer_load_dwordx4 a[40:43], v36, s[24:27], 0 offen offset:2048// 00000000324C: E05C1800 80862824
	buffer_load_dwordx4 a[44:47], v36, s[24:27], 0 offen offset:3072// 000000003254: E05C1C00 80862C24
	buffer_load_dwordx4 a[48:51], v37, s[24:27], 0 offen       // 00000000325C: E05C1000 80863025
	buffer_load_dwordx4 a[52:55], v37, s[24:27], 0 offen offset:1024// 000000003264: E05C1400 80863425
	buffer_load_dwordx4 a[56:59], v37, s[24:27], 0 offen offset:2048// 00000000326C: E05C1800 80863825
	buffer_load_dwordx4 a[60:63], v37, s[24:27], 0 offen offset:3072// 000000003274: E05C1C00 80863C25
	buffer_load_dwordx4 a[64:67], v38, s[24:27], 0 offen       // 00000000327C: E05C1000 80864026
	buffer_load_dwordx4 a[68:71], v38, s[24:27], 0 offen offset:1024// 000000003284: E05C1400 80864426
	buffer_load_dwordx4 a[72:75], v38, s[24:27], 0 offen offset:2048// 00000000328C: E05C1800 80864826
	buffer_load_dwordx4 a[76:79], v38, s[24:27], 0 offen offset:3072// 000000003294: E05C1C00 80864C26
	s_add_u32 s24, s58, s24                                    // 00000000329C: 8018183A
	s_addc_u32 s25, 0, s25                                     // 0000000032A0: 82191980
	v_mov_b32_e32 v128, 0                                      // 0000000032A4: 7F000280
	v_mov_b32_e32 v64, 0                                       // 0000000032A8: 7E800280
	v_mov_b32_e32 v129, 0                                      // 0000000032AC: 7F020280
	v_mov_b32_e32 v65, 0                                       // 0000000032B0: 7E820280
	v_mov_b32_e32 v130, 0                                      // 0000000032B4: 7F040280
	v_mov_b32_e32 v66, 0                                       // 0000000032B8: 7E840280
	v_mov_b32_e32 v131, 0                                      // 0000000032BC: 7F060280
	v_mov_b32_e32 v67, 0                                       // 0000000032C0: 7E860280
	v_mov_b32_e32 v132, 0                                      // 0000000032C4: 7F080280
	v_mov_b32_e32 v68, 0                                       // 0000000032C8: 7E880280
	v_mov_b32_e32 v133, 0                                      // 0000000032CC: 7F0A0280
	v_mov_b32_e32 v69, 0                                       // 0000000032D0: 7E8A0280
	v_mov_b32_e32 v134, 0                                      // 0000000032D4: 7F0C0280
	v_mov_b32_e32 v70, 0                                       // 0000000032D8: 7E8C0280
	v_mov_b32_e32 v135, 0                                      // 0000000032DC: 7F0E0280
	v_mov_b32_e32 v71, 0                                       // 0000000032E0: 7E8E0280
	v_mov_b32_e32 v136, 0                                      // 0000000032E4: 7F100280
	v_mov_b32_e32 v72, 0                                       // 0000000032E8: 7E900280
	v_mov_b32_e32 v137, 0                                      // 0000000032EC: 7F120280
	v_mov_b32_e32 v73, 0                                       // 0000000032F0: 7E920280
	v_mov_b32_e32 v138, 0                                      // 0000000032F4: 7F140280
	v_mov_b32_e32 v74, 0                                       // 0000000032F8: 7E940280
	v_mov_b32_e32 v139, 0                                      // 0000000032FC: 7F160280
	v_mov_b32_e32 v75, 0                                       // 000000003300: 7E960280
	v_mov_b32_e32 v140, 0                                      // 000000003304: 7F180280
	v_mov_b32_e32 v76, 0                                       // 000000003308: 7E980280
	v_mov_b32_e32 v141, 0                                      // 00000000330C: 7F1A0280
	v_mov_b32_e32 v77, 0                                       // 000000003310: 7E9A0280
	v_mov_b32_e32 v142, 0                                      // 000000003314: 7F1C0280
	v_mov_b32_e32 v78, 0                                       // 000000003318: 7E9C0280
	v_mov_b32_e32 v143, 0                                      // 00000000331C: 7F1E0280
	v_mov_b32_e32 v79, 0                                       // 000000003320: 7E9E0280
	v_mov_b32_e32 v144, 0                                      // 000000003324: 7F200280
	v_mov_b32_e32 v80, 0                                       // 000000003328: 7EA00280
	v_mov_b32_e32 v145, 0                                      // 00000000332C: 7F220280
	v_mov_b32_e32 v81, 0                                       // 000000003330: 7EA20280
	v_mov_b32_e32 v146, 0                                      // 000000003334: 7F240280
	v_mov_b32_e32 v82, 0                                       // 000000003338: 7EA40280
	v_mov_b32_e32 v147, 0                                      // 00000000333C: 7F260280
	v_mov_b32_e32 v83, 0                                       // 000000003340: 7EA60280
	v_mov_b32_e32 v148, 0                                      // 000000003344: 7F280280
	v_mov_b32_e32 v84, 0                                       // 000000003348: 7EA80280
	v_mov_b32_e32 v149, 0                                      // 00000000334C: 7F2A0280
	v_mov_b32_e32 v85, 0                                       // 000000003350: 7EAA0280
	v_mov_b32_e32 v150, 0                                      // 000000003354: 7F2C0280
	v_mov_b32_e32 v86, 0                                       // 000000003358: 7EAC0280
	v_mov_b32_e32 v151, 0                                      // 00000000335C: 7F2E0280
	v_mov_b32_e32 v87, 0                                       // 000000003360: 7EAE0280
	v_mov_b32_e32 v152, 0                                      // 000000003364: 7F300280
	v_mov_b32_e32 v88, 0                                       // 000000003368: 7EB00280
	v_mov_b32_e32 v153, 0                                      // 00000000336C: 7F320280
	v_mov_b32_e32 v89, 0                                       // 000000003370: 7EB20280
	v_mov_b32_e32 v154, 0                                      // 000000003374: 7F340280
	v_mov_b32_e32 v90, 0                                       // 000000003378: 7EB40280
	v_mov_b32_e32 v155, 0                                      // 00000000337C: 7F360280
	v_mov_b32_e32 v91, 0                                       // 000000003380: 7EB60280
	v_mov_b32_e32 v156, 0                                      // 000000003384: 7F380280
	v_mov_b32_e32 v92, 0                                       // 000000003388: 7EB80280
	v_mov_b32_e32 v157, 0                                      // 00000000338C: 7F3A0280
	v_mov_b32_e32 v93, 0                                       // 000000003390: 7EBA0280
	v_mov_b32_e32 v158, 0                                      // 000000003394: 7F3C0280
	v_mov_b32_e32 v94, 0                                       // 000000003398: 7EBC0280
	v_mov_b32_e32 v159, 0                                      // 00000000339C: 7F3E0280
	v_mov_b32_e32 v95, 0                                       // 0000000033A0: 7EBE0280
	v_mov_b32_e32 v160, 0                                      // 0000000033A4: 7F400280
	v_mov_b32_e32 v96, 0                                       // 0000000033A8: 7EC00280
	v_mov_b32_e32 v161, 0                                      // 0000000033AC: 7F420280
	v_mov_b32_e32 v97, 0                                       // 0000000033B0: 7EC20280
	v_mov_b32_e32 v162, 0                                      // 0000000033B4: 7F440280
	v_mov_b32_e32 v98, 0                                       // 0000000033B8: 7EC40280
	v_mov_b32_e32 v163, 0                                      // 0000000033BC: 7F460280
	v_mov_b32_e32 v99, 0                                       // 0000000033C0: 7EC60280
	v_mov_b32_e32 v164, 0                                      // 0000000033C4: 7F480280
	v_mov_b32_e32 v100, 0                                      // 0000000033C8: 7EC80280
	v_mov_b32_e32 v165, 0                                      // 0000000033CC: 7F4A0280
	v_mov_b32_e32 v101, 0                                      // 0000000033D0: 7ECA0280
	v_mov_b32_e32 v166, 0                                      // 0000000033D4: 7F4C0280
	v_mov_b32_e32 v102, 0                                      // 0000000033D8: 7ECC0280
	v_mov_b32_e32 v167, 0                                      // 0000000033DC: 7F4E0280
	v_mov_b32_e32 v103, 0                                      // 0000000033E0: 7ECE0280
	v_lshrrev_b32_e32 v50, 4, v0                               // 0000000033E4: 20640084
	v_mul_i32_i24_e32 v3, 34, v50                              // 0000000033E8: 0C0664A2
	v_and_b32_e32 v50, 15, v0                                  // 0000000033EC: 2664008F
	v_mul_i32_i24_e32 v51, 2, v50                              // 0000000033F0: 0C666482
	v_add_u32_e32 v3, v51, v3                                  // 0000000033F4: 68060733
	s_mul_i32 s60, s7, 0x88                                    // 0000000033F8: 923CFF07 00000088
	v_add_u32_e32 v3, s60, v3                                  // 000000003400: 6806063C
	v_lshlrev_b32_e32 v3, 2, v3                                // 000000003404: 24060682
	v_lshrrev_b32_e32 v50, 1, v0                               // 000000003408: 20640081
	v_mul_i32_i24_e32 v4, 34, v50                              // 00000000340C: 0C0864A2
	v_and_b32_e32 v51, 1, v0                                   // 000000003410: 26660081
	v_add_u32_e32 v4, v51, v4                                  // 000000003414: 68080933
	s_mul_i32 s60, s7, 2                                       // 000000003418: 923C8207
	v_add_u32_e32 v4, s60, v4                                  // 00000000341C: 6808083C
	v_lshlrev_b32_e32 v4, 2, v4                                // 000000003420: 24080882
	s_waitcnt vmcnt(20)                                        // 000000003424: BF8C4F74
	s_barrier                                                  // 000000003428: BF8A0000
	ds_read_b128 v[168:171], v2                                // 00000000342C: D9FE0000 A8000002
	ds_read_b128 v[172:175], v2 offset:64                      // 000000003434: D9FE0040 AC000002
	ds_read_b128 v[176:179], v2 offset:128                     // 00000000343C: D9FE0080 B0000002
	ds_read_b128 v[180:183], v2 offset:192                     // 000000003444: D9FE00C0 B4000002
	ds_read_b128 v[184:187], v2 offset:1024                    // 00000000344C: D9FE0400 B8000002
	ds_read_b128 v[188:191], v2 offset:1088                    // 000000003454: D9FE0440 BC000002
	ds_read_b128 v[192:195], v2 offset:1152                    // 00000000345C: D9FE0480 C0000002
	ds_read_b128 v[196:199], v2 offset:1216                    // 000000003464: D9FE04C0 C4000002
	s_cmp_lt_i32 s7, 2                                         // 00000000346C: BF048207
	s_cbranch_scc0 label_10B7                                  // 000000003470: BF840E5A

0000000000003474 <label_025D>:
	s_waitcnt vmcnt(12) lgkmcnt(0)                             // 000000003474: BF8C007C
	s_barrier                                                  // 000000003478: BF8A0000
	v_mfma_i32_16x16x32_i8 v[128:131], a[0:1], v[168:169], v[128:131]// 00000000347C: D3D70080 0E035100
	v_mfma_i32_16x16x32_i8 v[128:131], a[2:3], v[170:171], v[128:131]// 000000003484: D3D70080 0E035502
	buffer_load_dwordx4 a[80:83], v34, s[92:95], 0 offen       // 00000000348C: E05C1000 80975022
	v_mfma_i32_16x16x32_i8 v[128:131], a[4:5], v[172:173], v[128:131]// 000000003494: D3D70080 0E035904
	v_mfma_i32_16x16x32_i8 v[128:131], a[6:7], v[174:175], v[128:131]// 00000000349C: D3D70080 0E035D06
	buffer_load_dword v26, s[20:23], 0 offen lds               // 0000000034A4: E0511000 8005001A
	s_add_u32 m0, 0x100, s51                                   // 0000000034AC: 807C33FF 00000100
	v_mfma_i32_16x16x32_i8 v[128:131], a[8:9], v[176:177], v[128:131]// 0000000034B4: D3D70080 0E036108
	v_mfma_i32_16x16x32_i8 v[128:131], a[10:11], v[178:179], v[128:131]// 0000000034BC: D3D70080 0E03650A
	buffer_load_dwordx4 a[84:87], v34, s[92:95], 0 offen offset:1024// 0000000034C4: E05C1400 80975422
	v_mfma_i32_16x16x32_i8 v[128:131], a[12:13], v[180:181], v[128:131]// 0000000034CC: D3D70080 0E03690C
	v_mfma_i32_16x16x32_i8 v[128:131], a[14:15], v[182:183], v[128:131]// 0000000034D4: D3D70080 0E036D0E
	buffer_load_dword v27, s[20:23], 0 offen lds               // 0000000034DC: E0511000 8005001B
	s_add_u32 m0, 0x200, s51                                   // 0000000034E4: 807C33FF 00000200
	v_mfma_i32_16x16x32_i8 v[132:135], a[0:1], v[184:185], v[132:135]// 0000000034EC: D3D70084 0E137100
	v_mfma_i32_16x16x32_i8 v[132:135], a[2:3], v[186:187], v[132:135]// 0000000034F4: D3D70084 0E137502
	buffer_load_dwordx4 a[88:91], v34, s[92:95], 0 offen offset:2048// 0000000034FC: E05C1800 80975822
	v_mfma_i32_16x16x32_i8 v[132:135], a[4:5], v[188:189], v[132:135]// 000000003504: D3D70084 0E137904
	v_mfma_i32_16x16x32_i8 v[132:135], a[6:7], v[190:191], v[132:135]// 00000000350C: D3D70084 0E137D06
	buffer_load_dword v28, s[20:23], 0 offen lds               // 000000003514: E0511000 8005001C
	s_add_u32 m0, 0x300, s51                                   // 00000000351C: 807C33FF 00000300
	v_mfma_i32_16x16x32_i8 v[132:135], a[8:9], v[192:193], v[132:135]// 000000003524: D3D70084 0E138108
	v_mfma_i32_16x16x32_i8 v[132:135], a[10:11], v[194:195], v[132:135]// 00000000352C: D3D70084 0E13850A
	buffer_load_dwordx4 a[92:95], v34, s[92:95], 0 offen offset:3072// 000000003534: E05C1C00 80975C22
	v_mfma_i32_16x16x32_i8 v[132:135], a[12:13], v[196:197], v[132:135]// 00000000353C: D3D70084 0E13890C
	v_mfma_i32_16x16x32_i8 v[132:135], a[14:15], v[198:199], v[132:135]// 000000003544: D3D70084 0E138D0E
	buffer_load_dword v29, s[20:23], 0 offen lds               // 00000000354C: E0511000 8005001D
	s_add_u32 m0, 0x400, s51                                   // 000000003554: 807C33FF 00000400
	v_mfma_i32_16x16x32_i8 v[136:139], a[16:17], v[168:169], v[136:139]// 00000000355C: D3D70088 0E235110
	v_mfma_i32_16x16x32_i8 v[136:139], a[18:19], v[170:171], v[136:139]// 000000003564: D3D70088 0E235512
	buffer_load_dwordx4 a[96:99], v35, s[92:95], 0 offen       // 00000000356C: E05C1000 80976023
	v_mfma_i32_16x16x32_i8 v[136:139], a[20:21], v[172:173], v[136:139]// 000000003574: D3D70088 0E235914
	v_mfma_i32_16x16x32_i8 v[136:139], a[22:23], v[174:175], v[136:139]// 00000000357C: D3D70088 0E235D16
	buffer_load_dword v30, s[20:23], 0 offen lds               // 000000003584: E0511000 8005001E
	s_add_u32 m0, 0x500, s51                                   // 00000000358C: 807C33FF 00000500
	v_mfma_i32_16x16x32_i8 v[136:139], a[24:25], v[176:177], v[136:139]// 000000003594: D3D70088 0E236118
	v_mfma_i32_16x16x32_i8 v[136:139], a[26:27], v[178:179], v[136:139]// 00000000359C: D3D70088 0E23651A
	buffer_load_dwordx4 a[100:103], v35, s[92:95], 0 offen offset:1024// 0000000035A4: E05C1400 80976423
	v_mfma_i32_16x16x32_i8 v[136:139], a[28:29], v[180:181], v[136:139]// 0000000035AC: D3D70088 0E23691C
	v_mfma_i32_16x16x32_i8 v[136:139], a[30:31], v[182:183], v[136:139]// 0000000035B4: D3D70088 0E236D1E
	buffer_load_dword v31, s[20:23], 0 offen lds               // 0000000035BC: E0511000 8005001F
	s_add_u32 m0, 0x600, s51                                   // 0000000035C4: 807C33FF 00000600
	v_mfma_i32_16x16x32_i8 v[140:143], a[16:17], v[184:185], v[140:143]// 0000000035CC: D3D7008C 0E337110
	v_mfma_i32_16x16x32_i8 v[140:143], a[18:19], v[186:187], v[140:143]// 0000000035D4: D3D7008C 0E337512
	buffer_load_dwordx4 a[104:107], v35, s[92:95], 0 offen offset:2048// 0000000035DC: E05C1800 80976823
	v_mfma_i32_16x16x32_i8 v[140:143], a[20:21], v[188:189], v[140:143]// 0000000035E4: D3D7008C 0E337914
	v_mfma_i32_16x16x32_i8 v[140:143], a[22:23], v[190:191], v[140:143]// 0000000035EC: D3D7008C 0E337D16
	buffer_load_dword v32, s[20:23], 0 offen lds               // 0000000035F4: E0511000 80050020
	s_add_u32 m0, 0x700, s51                                   // 0000000035FC: 807C33FF 00000700
	v_mfma_i32_16x16x32_i8 v[140:143], a[24:25], v[192:193], v[140:143]// 000000003604: D3D7008C 0E338118
	v_mfma_i32_16x16x32_i8 v[140:143], a[26:27], v[194:195], v[140:143]// 00000000360C: D3D7008C 0E33851A
	buffer_load_dwordx4 a[108:111], v35, s[92:95], 0 offen offset:3072// 000000003614: E05C1C00 80976C23
	v_mfma_i32_16x16x32_i8 v[140:143], a[28:29], v[196:197], v[140:143]// 00000000361C: D3D7008C 0E33891C
	v_mfma_i32_16x16x32_i8 v[140:143], a[30:31], v[198:199], v[140:143]// 000000003624: D3D7008C 0E338D1E
	buffer_load_dword v33, s[20:23], 0 offen lds               // 00000000362C: E0511000 80050021
	s_add_u32 m0, 0, s50                                       // 000000003634: 807C3280
	s_waitcnt vmcnt(24)                                        // 000000003638: BF8C4F78
	v_mfma_i32_16x16x32_i8 v[144:147], a[32:33], v[168:169], v[144:147]// 00000000363C: D3D70090 0E435120
	v_mfma_i32_16x16x32_i8 v[144:147], a[34:35], v[170:171], v[144:147]// 000000003644: D3D70090 0E435522
	buffer_load_dwordx4 a[112:115], v36, s[92:95], 0 offen     // 00000000364C: E05C1000 80977024
	v_mfma_i32_16x16x32_i8 v[144:147], a[36:37], v[172:173], v[144:147]// 000000003654: D3D70090 0E435924
	v_mfma_i32_16x16x32_i8 v[144:147], a[38:39], v[174:175], v[144:147]// 00000000365C: D3D70090 0E435D26
	v_mfma_i32_16x16x32_i8 v[144:147], a[40:41], v[176:177], v[144:147]// 000000003664: D3D70090 0E436128
	v_mfma_i32_16x16x32_i8 v[144:147], a[42:43], v[178:179], v[144:147]// 00000000366C: D3D70090 0E43652A
	buffer_load_dwordx4 a[116:119], v36, s[92:95], 0 offen offset:1024// 000000003674: E05C1400 80977424
	v_mfma_i32_16x16x32_i8 v[144:147], a[44:45], v[180:181], v[144:147]// 00000000367C: D3D70090 0E43692C
	v_mfma_i32_16x16x32_i8 v[144:147], a[46:47], v[182:183], v[144:147]// 000000003684: D3D70090 0E436D2E
	v_mfma_i32_16x16x32_i8 v[148:151], a[32:33], v[184:185], v[148:151]// 00000000368C: D3D70094 0E537120
	v_mfma_i32_16x16x32_i8 v[148:151], a[34:35], v[186:187], v[148:151]// 000000003694: D3D70094 0E537522
	buffer_load_dwordx4 a[120:123], v36, s[92:95], 0 offen offset:2048// 00000000369C: E05C1800 80977824
	v_mfma_i32_16x16x32_i8 v[148:151], a[36:37], v[188:189], v[148:151]// 0000000036A4: D3D70094 0E537924
	v_mfma_i32_16x16x32_i8 v[148:151], a[38:39], v[190:191], v[148:151]// 0000000036AC: D3D70094 0E537D26
	v_mfma_i32_16x16x32_i8 v[148:151], a[40:41], v[192:193], v[148:151]// 0000000036B4: D3D70094 0E538128
	v_mfma_i32_16x16x32_i8 v[148:151], a[42:43], v[194:195], v[148:151]// 0000000036BC: D3D70094 0E53852A
	buffer_load_dwordx4 a[124:127], v36, s[92:95], 0 offen offset:3072// 0000000036C4: E05C1C00 80977C24
	v_mfma_i32_16x16x32_i8 v[148:151], a[44:45], v[196:197], v[148:151]// 0000000036CC: D3D70094 0E53892C
	v_mfma_i32_16x16x32_i8 v[148:151], a[46:47], v[198:199], v[148:151]// 0000000036D4: D3D70094 0E538D2E
	s_waitcnt vmcnt(24)                                        // 0000000036DC: BF8C4F78
	v_mfma_i32_16x16x32_i8 v[152:155], a[48:49], v[168:169], v[152:155]// 0000000036E0: D3D70098 0E635130
	v_mfma_i32_16x16x32_i8 v[152:155], a[50:51], v[170:171], v[152:155]// 0000000036E8: D3D70098 0E635532
	buffer_load_dwordx4 a[128:131], v37, s[92:95], 0 offen     // 0000000036F0: E05C1000 80978025
	v_mfma_i32_16x16x32_i8 v[152:155], a[52:53], v[172:173], v[152:155]// 0000000036F8: D3D70098 0E635934
	v_mfma_i32_16x16x32_i8 v[152:155], a[54:55], v[174:175], v[152:155]// 000000003700: D3D70098 0E635D36
	v_mfma_i32_16x16x32_i8 v[152:155], a[56:57], v[176:177], v[152:155]// 000000003708: D3D70098 0E636138
	v_mfma_i32_16x16x32_i8 v[152:155], a[58:59], v[178:179], v[152:155]// 000000003710: D3D70098 0E63653A
	buffer_load_dwordx4 a[132:135], v37, s[92:95], 0 offen offset:1024// 000000003718: E05C1400 80978425
	v_mfma_i32_16x16x32_i8 v[152:155], a[60:61], v[180:181], v[152:155]// 000000003720: D3D70098 0E63693C
	v_mfma_i32_16x16x32_i8 v[152:155], a[62:63], v[182:183], v[152:155]// 000000003728: D3D70098 0E636D3E
	v_mfma_i32_16x16x32_i8 v[156:159], a[48:49], v[184:185], v[156:159]// 000000003730: D3D7009C 0E737130
	v_mfma_i32_16x16x32_i8 v[156:159], a[50:51], v[186:187], v[156:159]// 000000003738: D3D7009C 0E737532
	buffer_load_dwordx4 a[136:139], v37, s[92:95], 0 offen offset:2048// 000000003740: E05C1800 80978825
	v_mfma_i32_16x16x32_i8 v[156:159], a[52:53], v[188:189], v[156:159]// 000000003748: D3D7009C 0E737934
	v_mfma_i32_16x16x32_i8 v[156:159], a[54:55], v[190:191], v[156:159]// 000000003750: D3D7009C 0E737D36
	v_mfma_i32_16x16x32_i8 v[156:159], a[56:57], v[192:193], v[156:159]// 000000003758: D3D7009C 0E738138
	v_mfma_i32_16x16x32_i8 v[156:159], a[58:59], v[194:195], v[156:159]// 000000003760: D3D7009C 0E73853A
	buffer_load_dwordx4 a[140:143], v37, s[92:95], 0 offen offset:3072// 000000003768: E05C1C00 80978C25
	v_mfma_i32_16x16x32_i8 v[156:159], a[60:61], v[196:197], v[156:159]// 000000003770: D3D7009C 0E73893C
	v_mfma_i32_16x16x32_i8 v[156:159], a[62:63], v[198:199], v[156:159]// 000000003778: D3D7009C 0E738D3E
	s_waitcnt vmcnt(24)                                        // 000000003780: BF8C4F78
	v_mfma_i32_16x16x32_i8 v[160:163], a[64:65], v[168:169], v[160:163]// 000000003784: D3D700A0 0E835140
	v_mfma_i32_16x16x32_i8 v[160:163], a[66:67], v[170:171], v[160:163]// 00000000378C: D3D700A0 0E835542
	buffer_load_dwordx4 a[144:147], v38, s[92:95], 0 offen     // 000000003794: E05C1000 80979026
	v_mfma_i32_16x16x32_i8 v[160:163], a[68:69], v[172:173], v[160:163]// 00000000379C: D3D700A0 0E835944
	v_mfma_i32_16x16x32_i8 v[160:163], a[70:71], v[174:175], v[160:163]// 0000000037A4: D3D700A0 0E835D46
	v_mfma_i32_16x16x32_i8 v[160:163], a[72:73], v[176:177], v[160:163]// 0000000037AC: D3D700A0 0E836148
	v_mfma_i32_16x16x32_i8 v[160:163], a[74:75], v[178:179], v[160:163]// 0000000037B4: D3D700A0 0E83654A
	buffer_load_dwordx4 a[148:151], v38, s[92:95], 0 offen offset:1024// 0000000037BC: E05C1400 80979426
	v_mfma_i32_16x16x32_i8 v[160:163], a[76:77], v[180:181], v[160:163]// 0000000037C4: D3D700A0 0E83694C
	v_mfma_i32_16x16x32_i8 v[160:163], a[78:79], v[182:183], v[160:163]// 0000000037CC: D3D700A0 0E836D4E
	v_mfma_i32_16x16x32_i8 v[164:167], a[64:65], v[184:185], v[164:167]// 0000000037D4: D3D700A4 0E937140
	v_mfma_i32_16x16x32_i8 v[164:167], a[66:67], v[186:187], v[164:167]// 0000000037DC: D3D700A4 0E937542
	buffer_load_dwordx4 a[152:155], v38, s[92:95], 0 offen offset:2048// 0000000037E4: E05C1800 80979826
	v_mfma_i32_16x16x32_i8 v[164:167], a[68:69], v[188:189], v[164:167]// 0000000037EC: D3D700A4 0E937944
	v_mfma_i32_16x16x32_i8 v[164:167], a[70:71], v[190:191], v[164:167]// 0000000037F4: D3D700A4 0E937D46
	v_mfma_i32_16x16x32_i8 v[164:167], a[72:73], v[192:193], v[164:167]// 0000000037FC: D3D700A4 0E938148
	v_mfma_i32_16x16x32_i8 v[164:167], a[74:75], v[194:195], v[164:167]// 000000003804: D3D700A4 0E93854A
	buffer_load_dwordx4 a[156:159], v38, s[92:95], 0 offen offset:3072// 00000000380C: E05C1C00 80979C26
	v_mfma_i32_16x16x32_i8 v[164:167], a[76:77], v[196:197], v[164:167]// 000000003814: D3D700A4 0E93894C
	v_mfma_i32_16x16x32_i8 v[164:167], a[78:79], v[198:199], v[164:167]// 00000000381C: D3D700A4 0E938D4E
	s_waitcnt vmcnt(12)                                        // 000000003824: BF8C0F7C
	s_barrier                                                  // 000000003828: BF8A0000
	v_mfma_i32_16x16x32_i8 v[64:67], a[80:81], v[168:169], v[64:67]// 00000000382C: D3D70040 0D035150
	v_mfma_i32_16x16x32_i8 v[64:67], a[82:83], v[170:171], v[64:67]// 000000003834: D3D70040 0D035552
	buffer_load_dwordx4 a[0:3], v34, s[24:27], 0 offen         // 00000000383C: E05C1000 80860022
	v_mfma_i32_16x16x32_i8 v[64:67], a[84:85], v[172:173], v[64:67]// 000000003844: D3D70040 0D035954
	v_mfma_i32_16x16x32_i8 v[64:67], a[86:87], v[174:175], v[64:67]// 00000000384C: D3D70040 0D035D56
	v_mfma_i32_16x16x32_i8 v[64:67], a[88:89], v[176:177], v[64:67]// 000000003854: D3D70040 0D036158
	v_mfma_i32_16x16x32_i8 v[64:67], a[90:91], v[178:179], v[64:67]// 00000000385C: D3D70040 0D03655A
	buffer_load_dwordx4 a[4:7], v34, s[24:27], 0 offen offset:1024// 000000003864: E05C1400 80860422
	v_mfma_i32_16x16x32_i8 v[64:67], a[92:93], v[180:181], v[64:67]// 00000000386C: D3D70040 0D03695C
	v_mfma_i32_16x16x32_i8 v[64:67], a[94:95], v[182:183], v[64:67]// 000000003874: D3D70040 0D036D5E
	v_mfma_i32_16x16x32_i8 v[68:71], a[80:81], v[184:185], v[68:71]// 00000000387C: D3D70044 0D137150
	v_mfma_i32_16x16x32_i8 v[68:71], a[82:83], v[186:187], v[68:71]// 000000003884: D3D70044 0D137552
	buffer_load_dwordx4 a[8:11], v34, s[24:27], 0 offen offset:2048// 00000000388C: E05C1800 80860822
	v_mfma_i32_16x16x32_i8 v[68:71], a[84:85], v[188:189], v[68:71]// 000000003894: D3D70044 0D137954
	v_mfma_i32_16x16x32_i8 v[68:71], a[86:87], v[190:191], v[68:71]// 00000000389C: D3D70044 0D137D56
	v_mfma_i32_16x16x32_i8 v[68:71], a[88:89], v[192:193], v[68:71]// 0000000038A4: D3D70044 0D138158
	v_mfma_i32_16x16x32_i8 v[68:71], a[90:91], v[194:195], v[68:71]// 0000000038AC: D3D70044 0D13855A
	buffer_load_dwordx4 a[12:15], v34, s[24:27], 0 offen offset:3072// 0000000038B4: E05C1C00 80860C22
	v_mfma_i32_16x16x32_i8 v[68:71], a[92:93], v[196:197], v[68:71]// 0000000038BC: D3D70044 0D13895C
	v_mfma_i32_16x16x32_i8 v[68:71], a[94:95], v[198:199], v[68:71]// 0000000038C4: D3D70044 0D138D5E
	v_mfma_i32_16x16x32_i8 v[72:75], a[96:97], v[168:169], v[72:75]// 0000000038CC: D3D70048 0D235160
	v_mfma_i32_16x16x32_i8 v[72:75], a[98:99], v[170:171], v[72:75]// 0000000038D4: D3D70048 0D235562
	buffer_load_dwordx4 a[16:19], v35, s[24:27], 0 offen       // 0000000038DC: E05C1000 80861023
	v_mfma_i32_16x16x32_i8 v[72:75], a[100:101], v[172:173], v[72:75]// 0000000038E4: D3D70048 0D235964
	v_mfma_i32_16x16x32_i8 v[72:75], a[102:103], v[174:175], v[72:75]// 0000000038EC: D3D70048 0D235D66
	v_mfma_i32_16x16x32_i8 v[72:75], a[104:105], v[176:177], v[72:75]// 0000000038F4: D3D70048 0D236168
	v_mfma_i32_16x16x32_i8 v[72:75], a[106:107], v[178:179], v[72:75]// 0000000038FC: D3D70048 0D23656A
	buffer_load_dwordx4 a[20:23], v35, s[24:27], 0 offen offset:1024// 000000003904: E05C1400 80861423
	v_mfma_i32_16x16x32_i8 v[72:75], a[108:109], v[180:181], v[72:75]// 00000000390C: D3D70048 0D23696C
	v_mfma_i32_16x16x32_i8 v[72:75], a[110:111], v[182:183], v[72:75]// 000000003914: D3D70048 0D236D6E
	v_mfma_i32_16x16x32_i8 v[76:79], a[96:97], v[184:185], v[76:79]// 00000000391C: D3D7004C 0D337160
	v_mfma_i32_16x16x32_i8 v[76:79], a[98:99], v[186:187], v[76:79]// 000000003924: D3D7004C 0D337562
	buffer_load_dwordx4 a[24:27], v35, s[24:27], 0 offen offset:2048// 00000000392C: E05C1800 80861823
	v_mfma_i32_16x16x32_i8 v[76:79], a[100:101], v[188:189], v[76:79]// 000000003934: D3D7004C 0D337964
	v_mfma_i32_16x16x32_i8 v[76:79], a[102:103], v[190:191], v[76:79]// 00000000393C: D3D7004C 0D337D66
	v_mfma_i32_16x16x32_i8 v[76:79], a[104:105], v[192:193], v[76:79]// 000000003944: D3D7004C 0D338168
	v_mfma_i32_16x16x32_i8 v[76:79], a[106:107], v[194:195], v[76:79]// 00000000394C: D3D7004C 0D33856A
	buffer_load_dwordx4 a[28:31], v35, s[24:27], 0 offen offset:3072// 000000003954: E05C1C00 80861C23
	v_mfma_i32_16x16x32_i8 v[76:79], a[108:109], v[196:197], v[76:79]// 00000000395C: D3D7004C 0D33896C
	v_mfma_i32_16x16x32_i8 v[76:79], a[110:111], v[198:199], v[76:79]// 000000003964: D3D7004C 0D338D6E
	s_waitcnt vmcnt(16)                                        // 00000000396C: BF8C4F70
	v_mfma_i32_16x16x32_i8 v[80:83], a[112:113], v[168:169], v[80:83]// 000000003970: D3D70050 0D435170
	v_mfma_i32_16x16x32_i8 v[80:83], a[114:115], v[170:171], v[80:83]// 000000003978: D3D70050 0D435572
	buffer_load_dwordx4 a[32:35], v36, s[24:27], 0 offen       // 000000003980: E05C1000 80862024
	v_mfma_i32_16x16x32_i8 v[80:83], a[116:117], v[172:173], v[80:83]// 000000003988: D3D70050 0D435974
	v_mfma_i32_16x16x32_i8 v[80:83], a[118:119], v[174:175], v[80:83]// 000000003990: D3D70050 0D435D76
	ds_read_b128 v[200:203], v2 offset:8320                    // 000000003998: D9FE2080 C8000002
	v_mfma_i32_16x16x32_i8 v[80:83], a[120:121], v[176:177], v[80:83]// 0000000039A0: D3D70050 0D436178
	v_mfma_i32_16x16x32_i8 v[80:83], a[122:123], v[178:179], v[80:83]// 0000000039A8: D3D70050 0D43657A
	buffer_load_dwordx4 a[36:39], v36, s[24:27], 0 offen offset:1024// 0000000039B0: E05C1400 80862424
	v_mfma_i32_16x16x32_i8 v[80:83], a[124:125], v[180:181], v[80:83]// 0000000039B8: D3D70050 0D43697C
	v_mfma_i32_16x16x32_i8 v[80:83], a[126:127], v[182:183], v[80:83]// 0000000039C0: D3D70050 0D436D7E
	ds_read_b128 v[204:207], v2 offset:8384                    // 0000000039C8: D9FE20C0 CC000002
	v_mfma_i32_16x16x32_i8 v[84:87], a[112:113], v[184:185], v[84:87]// 0000000039D0: D3D70054 0D537170
	v_mfma_i32_16x16x32_i8 v[84:87], a[114:115], v[186:187], v[84:87]// 0000000039D8: D3D70054 0D537572
	buffer_load_dwordx4 a[40:43], v36, s[24:27], 0 offen offset:2048// 0000000039E0: E05C1800 80862824
	v_mfma_i32_16x16x32_i8 v[84:87], a[116:117], v[188:189], v[84:87]// 0000000039E8: D3D70054 0D537974
	v_mfma_i32_16x16x32_i8 v[84:87], a[118:119], v[190:191], v[84:87]// 0000000039F0: D3D70054 0D537D76
	ds_read_b128 v[208:211], v2 offset:8448                    // 0000000039F8: D9FE2100 D0000002
	v_mfma_i32_16x16x32_i8 v[84:87], a[120:121], v[192:193], v[84:87]// 000000003A00: D3D70054 0D538178
	v_mfma_i32_16x16x32_i8 v[84:87], a[122:123], v[194:195], v[84:87]// 000000003A08: D3D70054 0D53857A
	buffer_load_dwordx4 a[44:47], v36, s[24:27], 0 offen offset:3072// 000000003A10: E05C1C00 80862C24
	v_mfma_i32_16x16x32_i8 v[84:87], a[124:125], v[196:197], v[84:87]// 000000003A18: D3D70054 0D53897C
	v_mfma_i32_16x16x32_i8 v[84:87], a[126:127], v[198:199], v[84:87]// 000000003A20: D3D70054 0D538D7E
	ds_read_b128 v[212:215], v2 offset:8512                    // 000000003A28: D9FE2140 D4000002
	s_waitcnt vmcnt(16)                                        // 000000003A30: BF8C4F70
	v_mfma_i32_16x16x32_i8 v[88:91], a[128:129], v[168:169], v[88:91]// 000000003A34: D3D70058 0D635180
	v_mfma_i32_16x16x32_i8 v[88:91], a[130:131], v[170:171], v[88:91]// 000000003A3C: D3D70058 0D635582
	buffer_load_dwordx4 a[48:51], v37, s[24:27], 0 offen       // 000000003A44: E05C1000 80863025
	v_mfma_i32_16x16x32_i8 v[88:91], a[132:133], v[172:173], v[88:91]// 000000003A4C: D3D70058 0D635984
	v_mfma_i32_16x16x32_i8 v[88:91], a[134:135], v[174:175], v[88:91]// 000000003A54: D3D70058 0D635D86
	ds_read_b128 v[216:219], v2 offset:9344                    // 000000003A5C: D9FE2480 D8000002
	v_mfma_i32_16x16x32_i8 v[88:91], a[136:137], v[176:177], v[88:91]// 000000003A64: D3D70058 0D636188
	v_mfma_i32_16x16x32_i8 v[88:91], a[138:139], v[178:179], v[88:91]// 000000003A6C: D3D70058 0D63658A
	buffer_load_dwordx4 a[52:55], v37, s[24:27], 0 offen offset:1024// 000000003A74: E05C1400 80863425
	v_mfma_i32_16x16x32_i8 v[88:91], a[140:141], v[180:181], v[88:91]// 000000003A7C: D3D70058 0D63698C
	v_mfma_i32_16x16x32_i8 v[88:91], a[142:143], v[182:183], v[88:91]// 000000003A84: D3D70058 0D636D8E
	ds_read_b128 v[220:223], v2 offset:9408                    // 000000003A8C: D9FE24C0 DC000002
	v_mfma_i32_16x16x32_i8 v[92:95], a[128:129], v[184:185], v[92:95]// 000000003A94: D3D7005C 0D737180
	v_mfma_i32_16x16x32_i8 v[92:95], a[130:131], v[186:187], v[92:95]// 000000003A9C: D3D7005C 0D737582
	buffer_load_dwordx4 a[56:59], v37, s[24:27], 0 offen offset:2048// 000000003AA4: E05C1800 80863825
	v_mfma_i32_16x16x32_i8 v[92:95], a[132:133], v[188:189], v[92:95]// 000000003AAC: D3D7005C 0D737984
	v_mfma_i32_16x16x32_i8 v[92:95], a[134:135], v[190:191], v[92:95]// 000000003AB4: D3D7005C 0D737D86
	ds_read_b128 v[224:227], v2 offset:9472                    // 000000003ABC: D9FE2500 E0000002
	v_mfma_i32_16x16x32_i8 v[92:95], a[136:137], v[192:193], v[92:95]// 000000003AC4: D3D7005C 0D738188
	v_mfma_i32_16x16x32_i8 v[92:95], a[138:139], v[194:195], v[92:95]// 000000003ACC: D3D7005C 0D73858A
	buffer_load_dwordx4 a[60:63], v37, s[24:27], 0 offen offset:3072// 000000003AD4: E05C1C00 80863C25
	v_mfma_i32_16x16x32_i8 v[92:95], a[140:141], v[196:197], v[92:95]// 000000003ADC: D3D7005C 0D73898C
	v_mfma_i32_16x16x32_i8 v[92:95], a[142:143], v[198:199], v[92:95]// 000000003AE4: D3D7005C 0D738D8E
	ds_read_b128 v[228:231], v2 offset:9536                    // 000000003AEC: D9FE2540 E4000002
	s_waitcnt vmcnt(16)                                        // 000000003AF4: BF8C4F70
	v_mfma_i32_16x16x32_i8 v[96:99], a[144:145], v[168:169], v[96:99]// 000000003AF8: D3D70060 0D835190
	v_mfma_i32_16x16x32_i8 v[96:99], a[146:147], v[170:171], v[96:99]// 000000003B00: D3D70060 0D835592
	buffer_load_dwordx4 a[64:67], v38, s[24:27], 0 offen       // 000000003B08: E05C1000 80864026
	v_mfma_i32_16x16x32_i8 v[96:99], a[148:149], v[172:173], v[96:99]// 000000003B10: D3D70060 0D835994
	v_mfma_i32_16x16x32_i8 v[96:99], a[150:151], v[174:175], v[96:99]// 000000003B18: D3D70060 0D835D96
	v_mfma_i32_16x16x32_i8 v[96:99], a[152:153], v[176:177], v[96:99]// 000000003B20: D3D70060 0D836198
	v_mfma_i32_16x16x32_i8 v[96:99], a[154:155], v[178:179], v[96:99]// 000000003B28: D3D70060 0D83659A
	buffer_load_dwordx4 a[68:71], v38, s[24:27], 0 offen offset:1024// 000000003B30: E05C1400 80864426
	v_mfma_i32_16x16x32_i8 v[96:99], a[156:157], v[180:181], v[96:99]// 000000003B38: D3D70060 0D83699C
	v_mfma_i32_16x16x32_i8 v[96:99], a[158:159], v[182:183], v[96:99]// 000000003B40: D3D70060 0D836D9E
	v_mfma_i32_16x16x32_i8 v[100:103], a[144:145], v[184:185], v[100:103]// 000000003B48: D3D70064 0D937190
	v_mfma_i32_16x16x32_i8 v[100:103], a[146:147], v[186:187], v[100:103]// 000000003B50: D3D70064 0D937592
	buffer_load_dwordx4 a[72:75], v38, s[24:27], 0 offen offset:2048// 000000003B58: E05C1800 80864826
	v_mfma_i32_16x16x32_i8 v[100:103], a[148:149], v[188:189], v[100:103]// 000000003B60: D3D70064 0D937994
	v_mfma_i32_16x16x32_i8 v[100:103], a[150:151], v[190:191], v[100:103]// 000000003B68: D3D70064 0D937D96
	v_mfma_i32_16x16x32_i8 v[100:103], a[152:153], v[192:193], v[100:103]// 000000003B70: D3D70064 0D938198
	v_mfma_i32_16x16x32_i8 v[100:103], a[154:155], v[194:195], v[100:103]// 000000003B78: D3D70064 0D93859A
	buffer_load_dwordx4 a[76:79], v38, s[24:27], 0 offen offset:3072// 000000003B80: E05C1C00 80864C26
	v_mfma_i32_16x16x32_i8 v[100:103], a[156:157], v[196:197], v[100:103]// 000000003B88: D3D70064 0D93899C
	v_mfma_i32_16x16x32_i8 v[100:103], a[158:159], v[198:199], v[100:103]// 000000003B90: D3D70064 0D938D9E
	s_add_u32 s60, 0x200, s80                                  // 000000003B98: 803C50FF 00000200
	s_cmp_lt_u32 s60, s81                                      // 000000003BA0: BF0A513C
	s_cselect_b32 s57, s57, 0                                  // 000000003BA4: 85398039
	s_add_u32 s60, 0x200, s80                                  // 000000003BA8: 803C50FF 00000200
	s_cmp_lt_u32 s60, s81                                      // 000000003BB0: BF0A513C
	s_cselect_b32 s58, s58, 0                                  // 000000003BB4: 853A803A
	s_add_u32 s20, s57, s20                                    // 000000003BB8: 80141439
	s_addc_u32 s21, 0, s21                                     // 000000003BBC: 82151580
	s_add_u32 s24, s58, s24                                    // 000000003BC0: 8018183A
	s_addc_u32 s25, 0, s25                                     // 000000003BC4: 82191980
	s_add_u32 s92, s90, s92                                    // 000000003BC8: 805C5C5A
	s_addc_u32 s93, 0, s93                                     // 000000003BCC: 825D5D80
	s_addk_i32 s80, 0x100                                      // 000000003BD0: B7500100
	s_cmp_lt_i32 s80, s81                                      // 000000003BD4: BF045150
	s_cbranch_scc0 label_0612                                  // 000000003BD8: BF8401DB
	s_waitcnt vmcnt(12) lgkmcnt(0)                             // 000000003BDC: BF8C007C
	s_barrier                                                  // 000000003BE0: BF8A0000
	v_mfma_i32_16x16x32_i8 v[128:131], a[0:1], v[200:201], v[128:131]// 000000003BE4: D3D70080 0E039100
	v_mfma_i32_16x16x32_i8 v[128:131], a[2:3], v[202:203], v[128:131]// 000000003BEC: D3D70080 0E039502
	buffer_load_dwordx4 a[80:83], v34, s[92:95], 0 offen       // 000000003BF4: E05C1000 80975022
	v_mfma_i32_16x16x32_i8 v[128:131], a[4:5], v[204:205], v[128:131]// 000000003BFC: D3D70080 0E039904
	v_mfma_i32_16x16x32_i8 v[128:131], a[6:7], v[206:207], v[128:131]// 000000003C04: D3D70080 0E039D06
	buffer_load_dword v26, s[20:23], 0 offen lds               // 000000003C0C: E0511000 8005001A
	s_add_u32 m0, 0x100, s50                                   // 000000003C14: 807C32FF 00000100
	v_mfma_i32_16x16x32_i8 v[128:131], a[8:9], v[208:209], v[128:131]// 000000003C1C: D3D70080 0E03A108
	v_mfma_i32_16x16x32_i8 v[128:131], a[10:11], v[210:211], v[128:131]// 000000003C24: D3D70080 0E03A50A
	buffer_load_dwordx4 a[84:87], v34, s[92:95], 0 offen offset:1024// 000000003C2C: E05C1400 80975422
	v_mfma_i32_16x16x32_i8 v[128:131], a[12:13], v[212:213], v[128:131]// 000000003C34: D3D70080 0E03A90C
	v_mfma_i32_16x16x32_i8 v[128:131], a[14:15], v[214:215], v[128:131]// 000000003C3C: D3D70080 0E03AD0E
	buffer_load_dword v27, s[20:23], 0 offen lds               // 000000003C44: E0511000 8005001B
	s_add_u32 m0, 0x200, s50                                   // 000000003C4C: 807C32FF 00000200
	v_mfma_i32_16x16x32_i8 v[132:135], a[0:1], v[216:217], v[132:135]// 000000003C54: D3D70084 0E13B100
	v_mfma_i32_16x16x32_i8 v[132:135], a[2:3], v[218:219], v[132:135]// 000000003C5C: D3D70084 0E13B502
	buffer_load_dwordx4 a[88:91], v34, s[92:95], 0 offen offset:2048// 000000003C64: E05C1800 80975822
	v_mfma_i32_16x16x32_i8 v[132:135], a[4:5], v[220:221], v[132:135]// 000000003C6C: D3D70084 0E13B904
	v_mfma_i32_16x16x32_i8 v[132:135], a[6:7], v[222:223], v[132:135]// 000000003C74: D3D70084 0E13BD06
	buffer_load_dword v28, s[20:23], 0 offen lds               // 000000003C7C: E0511000 8005001C
	s_add_u32 m0, 0x300, s50                                   // 000000003C84: 807C32FF 00000300
	v_mfma_i32_16x16x32_i8 v[132:135], a[8:9], v[224:225], v[132:135]// 000000003C8C: D3D70084 0E13C108
	v_mfma_i32_16x16x32_i8 v[132:135], a[10:11], v[226:227], v[132:135]// 000000003C94: D3D70084 0E13C50A
	buffer_load_dwordx4 a[92:95], v34, s[92:95], 0 offen offset:3072// 000000003C9C: E05C1C00 80975C22
	v_mfma_i32_16x16x32_i8 v[132:135], a[12:13], v[228:229], v[132:135]// 000000003CA4: D3D70084 0E13C90C
	v_mfma_i32_16x16x32_i8 v[132:135], a[14:15], v[230:231], v[132:135]// 000000003CAC: D3D70084 0E13CD0E
	buffer_load_dword v29, s[20:23], 0 offen lds               // 000000003CB4: E0511000 8005001D
	s_add_u32 m0, 0x400, s50                                   // 000000003CBC: 807C32FF 00000400
	v_mfma_i32_16x16x32_i8 v[136:139], a[16:17], v[200:201], v[136:139]// 000000003CC4: D3D70088 0E239110
	v_mfma_i32_16x16x32_i8 v[136:139], a[18:19], v[202:203], v[136:139]// 000000003CCC: D3D70088 0E239512
	buffer_load_dwordx4 a[96:99], v35, s[92:95], 0 offen       // 000000003CD4: E05C1000 80976023
	v_mfma_i32_16x16x32_i8 v[136:139], a[20:21], v[204:205], v[136:139]// 000000003CDC: D3D70088 0E239914
	v_mfma_i32_16x16x32_i8 v[136:139], a[22:23], v[206:207], v[136:139]// 000000003CE4: D3D70088 0E239D16
	buffer_load_dword v30, s[20:23], 0 offen lds               // 000000003CEC: E0511000 8005001E
	s_add_u32 m0, 0x500, s50                                   // 000000003CF4: 807C32FF 00000500
	v_mfma_i32_16x16x32_i8 v[136:139], a[24:25], v[208:209], v[136:139]// 000000003CFC: D3D70088 0E23A118
	v_mfma_i32_16x16x32_i8 v[136:139], a[26:27], v[210:211], v[136:139]// 000000003D04: D3D70088 0E23A51A
	buffer_load_dwordx4 a[100:103], v35, s[92:95], 0 offen offset:1024// 000000003D0C: E05C1400 80976423
	v_mfma_i32_16x16x32_i8 v[136:139], a[28:29], v[212:213], v[136:139]// 000000003D14: D3D70088 0E23A91C
	v_mfma_i32_16x16x32_i8 v[136:139], a[30:31], v[214:215], v[136:139]// 000000003D1C: D3D70088 0E23AD1E
	buffer_load_dword v31, s[20:23], 0 offen lds               // 000000003D24: E0511000 8005001F
	s_add_u32 m0, 0x600, s50                                   // 000000003D2C: 807C32FF 00000600
	v_mfma_i32_16x16x32_i8 v[140:143], a[16:17], v[216:217], v[140:143]// 000000003D34: D3D7008C 0E33B110
	v_mfma_i32_16x16x32_i8 v[140:143], a[18:19], v[218:219], v[140:143]// 000000003D3C: D3D7008C 0E33B512
	buffer_load_dwordx4 a[104:107], v35, s[92:95], 0 offen offset:2048// 000000003D44: E05C1800 80976823
	v_mfma_i32_16x16x32_i8 v[140:143], a[20:21], v[220:221], v[140:143]// 000000003D4C: D3D7008C 0E33B914
	v_mfma_i32_16x16x32_i8 v[140:143], a[22:23], v[222:223], v[140:143]// 000000003D54: D3D7008C 0E33BD16
	buffer_load_dword v32, s[20:23], 0 offen lds               // 000000003D5C: E0511000 80050020
	s_add_u32 m0, 0x700, s50                                   // 000000003D64: 807C32FF 00000700
	v_mfma_i32_16x16x32_i8 v[140:143], a[24:25], v[224:225], v[140:143]// 000000003D6C: D3D7008C 0E33C118
	v_mfma_i32_16x16x32_i8 v[140:143], a[26:27], v[226:227], v[140:143]// 000000003D74: D3D7008C 0E33C51A
	buffer_load_dwordx4 a[108:111], v35, s[92:95], 0 offen offset:3072// 000000003D7C: E05C1C00 80976C23
	v_mfma_i32_16x16x32_i8 v[140:143], a[28:29], v[228:229], v[140:143]// 000000003D84: D3D7008C 0E33C91C
	v_mfma_i32_16x16x32_i8 v[140:143], a[30:31], v[230:231], v[140:143]// 000000003D8C: D3D7008C 0E33CD1E
	buffer_load_dword v33, s[20:23], 0 offen lds               // 000000003D94: E0511000 80050021
	s_add_u32 m0, 0, s51                                       // 000000003D9C: 807C3380
	s_waitcnt vmcnt(24)                                        // 000000003DA0: BF8C4F78
	v_mfma_i32_16x16x32_i8 v[144:147], a[32:33], v[200:201], v[144:147]// 000000003DA4: D3D70090 0E439120
	v_mfma_i32_16x16x32_i8 v[144:147], a[34:35], v[202:203], v[144:147]// 000000003DAC: D3D70090 0E439522
	buffer_load_dwordx4 a[112:115], v36, s[92:95], 0 offen     // 000000003DB4: E05C1000 80977024
	v_mfma_i32_16x16x32_i8 v[144:147], a[36:37], v[204:205], v[144:147]// 000000003DBC: D3D70090 0E439924
	v_mfma_i32_16x16x32_i8 v[144:147], a[38:39], v[206:207], v[144:147]// 000000003DC4: D3D70090 0E439D26
	v_mfma_i32_16x16x32_i8 v[144:147], a[40:41], v[208:209], v[144:147]// 000000003DCC: D3D70090 0E43A128
	v_mfma_i32_16x16x32_i8 v[144:147], a[42:43], v[210:211], v[144:147]// 000000003DD4: D3D70090 0E43A52A
	buffer_load_dwordx4 a[116:119], v36, s[92:95], 0 offen offset:1024// 000000003DDC: E05C1400 80977424
	v_mfma_i32_16x16x32_i8 v[144:147], a[44:45], v[212:213], v[144:147]// 000000003DE4: D3D70090 0E43A92C
	v_mfma_i32_16x16x32_i8 v[144:147], a[46:47], v[214:215], v[144:147]// 000000003DEC: D3D70090 0E43AD2E
	v_mfma_i32_16x16x32_i8 v[148:151], a[32:33], v[216:217], v[148:151]// 000000003DF4: D3D70094 0E53B120
	v_mfma_i32_16x16x32_i8 v[148:151], a[34:35], v[218:219], v[148:151]// 000000003DFC: D3D70094 0E53B522
	buffer_load_dwordx4 a[120:123], v36, s[92:95], 0 offen offset:2048// 000000003E04: E05C1800 80977824
	v_mfma_i32_16x16x32_i8 v[148:151], a[36:37], v[220:221], v[148:151]// 000000003E0C: D3D70094 0E53B924
	v_mfma_i32_16x16x32_i8 v[148:151], a[38:39], v[222:223], v[148:151]// 000000003E14: D3D70094 0E53BD26
	v_mfma_i32_16x16x32_i8 v[148:151], a[40:41], v[224:225], v[148:151]// 000000003E1C: D3D70094 0E53C128
	v_mfma_i32_16x16x32_i8 v[148:151], a[42:43], v[226:227], v[148:151]// 000000003E24: D3D70094 0E53C52A
	buffer_load_dwordx4 a[124:127], v36, s[92:95], 0 offen offset:3072// 000000003E2C: E05C1C00 80977C24
	v_mfma_i32_16x16x32_i8 v[148:151], a[44:45], v[228:229], v[148:151]// 000000003E34: D3D70094 0E53C92C
	v_mfma_i32_16x16x32_i8 v[148:151], a[46:47], v[230:231], v[148:151]// 000000003E3C: D3D70094 0E53CD2E
	s_waitcnt vmcnt(24)                                        // 000000003E44: BF8C4F78
	v_mfma_i32_16x16x32_i8 v[152:155], a[48:49], v[200:201], v[152:155]// 000000003E48: D3D70098 0E639130
	v_mfma_i32_16x16x32_i8 v[152:155], a[50:51], v[202:203], v[152:155]// 000000003E50: D3D70098 0E639532
	buffer_load_dwordx4 a[128:131], v37, s[92:95], 0 offen     // 000000003E58: E05C1000 80978025
	v_mfma_i32_16x16x32_i8 v[152:155], a[52:53], v[204:205], v[152:155]// 000000003E60: D3D70098 0E639934
	v_mfma_i32_16x16x32_i8 v[152:155], a[54:55], v[206:207], v[152:155]// 000000003E68: D3D70098 0E639D36
	v_mfma_i32_16x16x32_i8 v[152:155], a[56:57], v[208:209], v[152:155]// 000000003E70: D3D70098 0E63A138
	v_mfma_i32_16x16x32_i8 v[152:155], a[58:59], v[210:211], v[152:155]// 000000003E78: D3D70098 0E63A53A
	buffer_load_dwordx4 a[132:135], v37, s[92:95], 0 offen offset:1024// 000000003E80: E05C1400 80978425
	v_mfma_i32_16x16x32_i8 v[152:155], a[60:61], v[212:213], v[152:155]// 000000003E88: D3D70098 0E63A93C
	v_mfma_i32_16x16x32_i8 v[152:155], a[62:63], v[214:215], v[152:155]// 000000003E90: D3D70098 0E63AD3E
	v_mfma_i32_16x16x32_i8 v[156:159], a[48:49], v[216:217], v[156:159]// 000000003E98: D3D7009C 0E73B130
	v_mfma_i32_16x16x32_i8 v[156:159], a[50:51], v[218:219], v[156:159]// 000000003EA0: D3D7009C 0E73B532
	buffer_load_dwordx4 a[136:139], v37, s[92:95], 0 offen offset:2048// 000000003EA8: E05C1800 80978825
	v_mfma_i32_16x16x32_i8 v[156:159], a[52:53], v[220:221], v[156:159]// 000000003EB0: D3D7009C 0E73B934
	v_mfma_i32_16x16x32_i8 v[156:159], a[54:55], v[222:223], v[156:159]// 000000003EB8: D3D7009C 0E73BD36
	v_mfma_i32_16x16x32_i8 v[156:159], a[56:57], v[224:225], v[156:159]// 000000003EC0: D3D7009C 0E73C138
	v_mfma_i32_16x16x32_i8 v[156:159], a[58:59], v[226:227], v[156:159]// 000000003EC8: D3D7009C 0E73C53A
	buffer_load_dwordx4 a[140:143], v37, s[92:95], 0 offen offset:3072// 000000003ED0: E05C1C00 80978C25
	v_mfma_i32_16x16x32_i8 v[156:159], a[60:61], v[228:229], v[156:159]// 000000003ED8: D3D7009C 0E73C93C
	v_mfma_i32_16x16x32_i8 v[156:159], a[62:63], v[230:231], v[156:159]// 000000003EE0: D3D7009C 0E73CD3E
	s_waitcnt vmcnt(24)                                        // 000000003EE8: BF8C4F78
	v_mfma_i32_16x16x32_i8 v[160:163], a[64:65], v[200:201], v[160:163]// 000000003EEC: D3D700A0 0E839140
	v_mfma_i32_16x16x32_i8 v[160:163], a[66:67], v[202:203], v[160:163]// 000000003EF4: D3D700A0 0E839542
	buffer_load_dwordx4 a[144:147], v38, s[92:95], 0 offen     // 000000003EFC: E05C1000 80979026
	v_mfma_i32_16x16x32_i8 v[160:163], a[68:69], v[204:205], v[160:163]// 000000003F04: D3D700A0 0E839944
	v_mfma_i32_16x16x32_i8 v[160:163], a[70:71], v[206:207], v[160:163]// 000000003F0C: D3D700A0 0E839D46
	v_mfma_i32_16x16x32_i8 v[160:163], a[72:73], v[208:209], v[160:163]// 000000003F14: D3D700A0 0E83A148
	v_mfma_i32_16x16x32_i8 v[160:163], a[74:75], v[210:211], v[160:163]// 000000003F1C: D3D700A0 0E83A54A
	buffer_load_dwordx4 a[148:151], v38, s[92:95], 0 offen offset:1024// 000000003F24: E05C1400 80979426
	v_mfma_i32_16x16x32_i8 v[160:163], a[76:77], v[212:213], v[160:163]// 000000003F2C: D3D700A0 0E83A94C
	v_mfma_i32_16x16x32_i8 v[160:163], a[78:79], v[214:215], v[160:163]// 000000003F34: D3D700A0 0E83AD4E
	v_mfma_i32_16x16x32_i8 v[164:167], a[64:65], v[216:217], v[164:167]// 000000003F3C: D3D700A4 0E93B140
	v_mfma_i32_16x16x32_i8 v[164:167], a[66:67], v[218:219], v[164:167]// 000000003F44: D3D700A4 0E93B542
	buffer_load_dwordx4 a[152:155], v38, s[92:95], 0 offen offset:2048// 000000003F4C: E05C1800 80979826
	v_mfma_i32_16x16x32_i8 v[164:167], a[68:69], v[220:221], v[164:167]// 000000003F54: D3D700A4 0E93B944
	v_mfma_i32_16x16x32_i8 v[164:167], a[70:71], v[222:223], v[164:167]// 000000003F5C: D3D700A4 0E93BD46
	v_mfma_i32_16x16x32_i8 v[164:167], a[72:73], v[224:225], v[164:167]// 000000003F64: D3D700A4 0E93C148
	v_mfma_i32_16x16x32_i8 v[164:167], a[74:75], v[226:227], v[164:167]// 000000003F6C: D3D700A4 0E93C54A
	buffer_load_dwordx4 a[156:159], v38, s[92:95], 0 offen offset:3072// 000000003F74: E05C1C00 80979C26
	v_mfma_i32_16x16x32_i8 v[164:167], a[76:77], v[228:229], v[164:167]// 000000003F7C: D3D700A4 0E93C94C
	v_mfma_i32_16x16x32_i8 v[164:167], a[78:79], v[230:231], v[164:167]// 000000003F84: D3D700A4 0E93CD4E
	s_waitcnt vmcnt(12)                                        // 000000003F8C: BF8C0F7C
	s_barrier                                                  // 000000003F90: BF8A0000
	v_mfma_i32_16x16x32_i8 v[64:67], a[80:81], v[200:201], v[64:67]// 000000003F94: D3D70040 0D039150
	v_mfma_i32_16x16x32_i8 v[64:67], a[82:83], v[202:203], v[64:67]// 000000003F9C: D3D70040 0D039552
	buffer_load_dwordx4 a[0:3], v34, s[24:27], 0 offen         // 000000003FA4: E05C1000 80860022
	v_mfma_i32_16x16x32_i8 v[64:67], a[84:85], v[204:205], v[64:67]// 000000003FAC: D3D70040 0D039954
	v_mfma_i32_16x16x32_i8 v[64:67], a[86:87], v[206:207], v[64:67]// 000000003FB4: D3D70040 0D039D56
	v_mfma_i32_16x16x32_i8 v[64:67], a[88:89], v[208:209], v[64:67]// 000000003FBC: D3D70040 0D03A158
	v_mfma_i32_16x16x32_i8 v[64:67], a[90:91], v[210:211], v[64:67]// 000000003FC4: D3D70040 0D03A55A
	buffer_load_dwordx4 a[4:7], v34, s[24:27], 0 offen offset:1024// 000000003FCC: E05C1400 80860422
	v_mfma_i32_16x16x32_i8 v[64:67], a[92:93], v[212:213], v[64:67]// 000000003FD4: D3D70040 0D03A95C
	v_mfma_i32_16x16x32_i8 v[64:67], a[94:95], v[214:215], v[64:67]// 000000003FDC: D3D70040 0D03AD5E
	v_mfma_i32_16x16x32_i8 v[68:71], a[80:81], v[216:217], v[68:71]// 000000003FE4: D3D70044 0D13B150
	v_mfma_i32_16x16x32_i8 v[68:71], a[82:83], v[218:219], v[68:71]// 000000003FEC: D3D70044 0D13B552
	buffer_load_dwordx4 a[8:11], v34, s[24:27], 0 offen offset:2048// 000000003FF4: E05C1800 80860822
	v_mfma_i32_16x16x32_i8 v[68:71], a[84:85], v[220:221], v[68:71]// 000000003FFC: D3D70044 0D13B954
	v_mfma_i32_16x16x32_i8 v[68:71], a[86:87], v[222:223], v[68:71]// 000000004004: D3D70044 0D13BD56
	v_mfma_i32_16x16x32_i8 v[68:71], a[88:89], v[224:225], v[68:71]// 00000000400C: D3D70044 0D13C158
	v_mfma_i32_16x16x32_i8 v[68:71], a[90:91], v[226:227], v[68:71]// 000000004014: D3D70044 0D13C55A
	buffer_load_dwordx4 a[12:15], v34, s[24:27], 0 offen offset:3072// 00000000401C: E05C1C00 80860C22
	v_mfma_i32_16x16x32_i8 v[68:71], a[92:93], v[228:229], v[68:71]// 000000004024: D3D70044 0D13C95C
	v_mfma_i32_16x16x32_i8 v[68:71], a[94:95], v[230:231], v[68:71]// 00000000402C: D3D70044 0D13CD5E
	v_mfma_i32_16x16x32_i8 v[72:75], a[96:97], v[200:201], v[72:75]// 000000004034: D3D70048 0D239160
	v_mfma_i32_16x16x32_i8 v[72:75], a[98:99], v[202:203], v[72:75]// 00000000403C: D3D70048 0D239562
	buffer_load_dwordx4 a[16:19], v35, s[24:27], 0 offen       // 000000004044: E05C1000 80861023
	v_mfma_i32_16x16x32_i8 v[72:75], a[100:101], v[204:205], v[72:75]// 00000000404C: D3D70048 0D239964
	v_mfma_i32_16x16x32_i8 v[72:75], a[102:103], v[206:207], v[72:75]// 000000004054: D3D70048 0D239D66
	v_mfma_i32_16x16x32_i8 v[72:75], a[104:105], v[208:209], v[72:75]// 00000000405C: D3D70048 0D23A168
	v_mfma_i32_16x16x32_i8 v[72:75], a[106:107], v[210:211], v[72:75]// 000000004064: D3D70048 0D23A56A
	buffer_load_dwordx4 a[20:23], v35, s[24:27], 0 offen offset:1024// 00000000406C: E05C1400 80861423
	v_mfma_i32_16x16x32_i8 v[72:75], a[108:109], v[212:213], v[72:75]// 000000004074: D3D70048 0D23A96C
	v_mfma_i32_16x16x32_i8 v[72:75], a[110:111], v[214:215], v[72:75]// 00000000407C: D3D70048 0D23AD6E
	v_mfma_i32_16x16x32_i8 v[76:79], a[96:97], v[216:217], v[76:79]// 000000004084: D3D7004C 0D33B160
	v_mfma_i32_16x16x32_i8 v[76:79], a[98:99], v[218:219], v[76:79]// 00000000408C: D3D7004C 0D33B562
	buffer_load_dwordx4 a[24:27], v35, s[24:27], 0 offen offset:2048// 000000004094: E05C1800 80861823
	v_mfma_i32_16x16x32_i8 v[76:79], a[100:101], v[220:221], v[76:79]// 00000000409C: D3D7004C 0D33B964
	v_mfma_i32_16x16x32_i8 v[76:79], a[102:103], v[222:223], v[76:79]// 0000000040A4: D3D7004C 0D33BD66
	v_mfma_i32_16x16x32_i8 v[76:79], a[104:105], v[224:225], v[76:79]// 0000000040AC: D3D7004C 0D33C168
	v_mfma_i32_16x16x32_i8 v[76:79], a[106:107], v[226:227], v[76:79]// 0000000040B4: D3D7004C 0D33C56A
	buffer_load_dwordx4 a[28:31], v35, s[24:27], 0 offen offset:3072// 0000000040BC: E05C1C00 80861C23
	v_mfma_i32_16x16x32_i8 v[76:79], a[108:109], v[228:229], v[76:79]// 0000000040C4: D3D7004C 0D33C96C
	v_mfma_i32_16x16x32_i8 v[76:79], a[110:111], v[230:231], v[76:79]// 0000000040CC: D3D7004C 0D33CD6E
	s_waitcnt vmcnt(16)                                        // 0000000040D4: BF8C4F70
	v_mfma_i32_16x16x32_i8 v[80:83], a[112:113], v[200:201], v[80:83]// 0000000040D8: D3D70050 0D439170
	v_mfma_i32_16x16x32_i8 v[80:83], a[114:115], v[202:203], v[80:83]// 0000000040E0: D3D70050 0D439572
	buffer_load_dwordx4 a[32:35], v36, s[24:27], 0 offen       // 0000000040E8: E05C1000 80862024
	v_mfma_i32_16x16x32_i8 v[80:83], a[116:117], v[204:205], v[80:83]// 0000000040F0: D3D70050 0D439974
	v_mfma_i32_16x16x32_i8 v[80:83], a[118:119], v[206:207], v[80:83]// 0000000040F8: D3D70050 0D439D76
	ds_read_b128 v[168:171], v2                                // 000000004100: D9FE0000 A8000002
	v_mfma_i32_16x16x32_i8 v[80:83], a[120:121], v[208:209], v[80:83]// 000000004108: D3D70050 0D43A178
	v_mfma_i32_16x16x32_i8 v[80:83], a[122:123], v[210:211], v[80:83]// 000000004110: D3D70050 0D43A57A
	buffer_load_dwordx4 a[36:39], v36, s[24:27], 0 offen offset:1024// 000000004118: E05C1400 80862424
	v_mfma_i32_16x16x32_i8 v[80:83], a[124:125], v[212:213], v[80:83]// 000000004120: D3D70050 0D43A97C
	v_mfma_i32_16x16x32_i8 v[80:83], a[126:127], v[214:215], v[80:83]// 000000004128: D3D70050 0D43AD7E
	ds_read_b128 v[172:175], v2 offset:64                      // 000000004130: D9FE0040 AC000002
	v_mfma_i32_16x16x32_i8 v[84:87], a[112:113], v[216:217], v[84:87]// 000000004138: D3D70054 0D53B170
	v_mfma_i32_16x16x32_i8 v[84:87], a[114:115], v[218:219], v[84:87]// 000000004140: D3D70054 0D53B572
	buffer_load_dwordx4 a[40:43], v36, s[24:27], 0 offen offset:2048// 000000004148: E05C1800 80862824
	v_mfma_i32_16x16x32_i8 v[84:87], a[116:117], v[220:221], v[84:87]// 000000004150: D3D70054 0D53B974
	v_mfma_i32_16x16x32_i8 v[84:87], a[118:119], v[222:223], v[84:87]// 000000004158: D3D70054 0D53BD76
	ds_read_b128 v[176:179], v2 offset:128                     // 000000004160: D9FE0080 B0000002
	v_mfma_i32_16x16x32_i8 v[84:87], a[120:121], v[224:225], v[84:87]// 000000004168: D3D70054 0D53C178
	v_mfma_i32_16x16x32_i8 v[84:87], a[122:123], v[226:227], v[84:87]// 000000004170: D3D70054 0D53C57A
	buffer_load_dwordx4 a[44:47], v36, s[24:27], 0 offen offset:3072// 000000004178: E05C1C00 80862C24
	v_mfma_i32_16x16x32_i8 v[84:87], a[124:125], v[228:229], v[84:87]// 000000004180: D3D70054 0D53C97C
	v_mfma_i32_16x16x32_i8 v[84:87], a[126:127], v[230:231], v[84:87]// 000000004188: D3D70054 0D53CD7E
	ds_read_b128 v[180:183], v2 offset:192                     // 000000004190: D9FE00C0 B4000002
	s_waitcnt vmcnt(16)                                        // 000000004198: BF8C4F70
	v_mfma_i32_16x16x32_i8 v[88:91], a[128:129], v[200:201], v[88:91]// 00000000419C: D3D70058 0D639180
	v_mfma_i32_16x16x32_i8 v[88:91], a[130:131], v[202:203], v[88:91]// 0000000041A4: D3D70058 0D639582
	buffer_load_dwordx4 a[48:51], v37, s[24:27], 0 offen       // 0000000041AC: E05C1000 80863025
	v_mfma_i32_16x16x32_i8 v[88:91], a[132:133], v[204:205], v[88:91]// 0000000041B4: D3D70058 0D639984
	v_mfma_i32_16x16x32_i8 v[88:91], a[134:135], v[206:207], v[88:91]// 0000000041BC: D3D70058 0D639D86
	ds_read_b128 v[184:187], v2 offset:1024                    // 0000000041C4: D9FE0400 B8000002
	v_mfma_i32_16x16x32_i8 v[88:91], a[136:137], v[208:209], v[88:91]// 0000000041CC: D3D70058 0D63A188
	v_mfma_i32_16x16x32_i8 v[88:91], a[138:139], v[210:211], v[88:91]// 0000000041D4: D3D70058 0D63A58A
	buffer_load_dwordx4 a[52:55], v37, s[24:27], 0 offen offset:1024// 0000000041DC: E05C1400 80863425
	v_mfma_i32_16x16x32_i8 v[88:91], a[140:141], v[212:213], v[88:91]// 0000000041E4: D3D70058 0D63A98C
	v_mfma_i32_16x16x32_i8 v[88:91], a[142:143], v[214:215], v[88:91]// 0000000041EC: D3D70058 0D63AD8E
	ds_read_b128 v[188:191], v2 offset:1088                    // 0000000041F4: D9FE0440 BC000002
	v_mfma_i32_16x16x32_i8 v[92:95], a[128:129], v[216:217], v[92:95]// 0000000041FC: D3D7005C 0D73B180
	v_mfma_i32_16x16x32_i8 v[92:95], a[130:131], v[218:219], v[92:95]// 000000004204: D3D7005C 0D73B582
	buffer_load_dwordx4 a[56:59], v37, s[24:27], 0 offen offset:2048// 00000000420C: E05C1800 80863825
	v_mfma_i32_16x16x32_i8 v[92:95], a[132:133], v[220:221], v[92:95]// 000000004214: D3D7005C 0D73B984
	v_mfma_i32_16x16x32_i8 v[92:95], a[134:135], v[222:223], v[92:95]// 00000000421C: D3D7005C 0D73BD86
	ds_read_b128 v[192:195], v2 offset:1152                    // 000000004224: D9FE0480 C0000002
	v_mfma_i32_16x16x32_i8 v[92:95], a[136:137], v[224:225], v[92:95]// 00000000422C: D3D7005C 0D73C188
	v_mfma_i32_16x16x32_i8 v[92:95], a[138:139], v[226:227], v[92:95]// 000000004234: D3D7005C 0D73C58A
	buffer_load_dwordx4 a[60:63], v37, s[24:27], 0 offen offset:3072// 00000000423C: E05C1C00 80863C25
	v_mfma_i32_16x16x32_i8 v[92:95], a[140:141], v[228:229], v[92:95]// 000000004244: D3D7005C 0D73C98C
	v_mfma_i32_16x16x32_i8 v[92:95], a[142:143], v[230:231], v[92:95]// 00000000424C: D3D7005C 0D73CD8E
	ds_read_b128 v[196:199], v2 offset:1216                    // 000000004254: D9FE04C0 C4000002
	s_waitcnt vmcnt(16)                                        // 00000000425C: BF8C4F70
	v_mfma_i32_16x16x32_i8 v[96:99], a[144:145], v[200:201], v[96:99]// 000000004260: D3D70060 0D839190
	v_mfma_i32_16x16x32_i8 v[96:99], a[146:147], v[202:203], v[96:99]// 000000004268: D3D70060 0D839592
	buffer_load_dwordx4 a[64:67], v38, s[24:27], 0 offen       // 000000004270: E05C1000 80864026
	v_mfma_i32_16x16x32_i8 v[96:99], a[148:149], v[204:205], v[96:99]// 000000004278: D3D70060 0D839994
	v_mfma_i32_16x16x32_i8 v[96:99], a[150:151], v[206:207], v[96:99]// 000000004280: D3D70060 0D839D96
	v_mfma_i32_16x16x32_i8 v[96:99], a[152:153], v[208:209], v[96:99]// 000000004288: D3D70060 0D83A198
	v_mfma_i32_16x16x32_i8 v[96:99], a[154:155], v[210:211], v[96:99]// 000000004290: D3D70060 0D83A59A
	buffer_load_dwordx4 a[68:71], v38, s[24:27], 0 offen offset:1024// 000000004298: E05C1400 80864426
	v_mfma_i32_16x16x32_i8 v[96:99], a[156:157], v[212:213], v[96:99]// 0000000042A0: D3D70060 0D83A99C
	v_mfma_i32_16x16x32_i8 v[96:99], a[158:159], v[214:215], v[96:99]// 0000000042A8: D3D70060 0D83AD9E
	v_mfma_i32_16x16x32_i8 v[100:103], a[144:145], v[216:217], v[100:103]// 0000000042B0: D3D70064 0D93B190
	v_mfma_i32_16x16x32_i8 v[100:103], a[146:147], v[218:219], v[100:103]// 0000000042B8: D3D70064 0D93B592
	buffer_load_dwordx4 a[72:75], v38, s[24:27], 0 offen offset:2048// 0000000042C0: E05C1800 80864826
	v_mfma_i32_16x16x32_i8 v[100:103], a[148:149], v[220:221], v[100:103]// 0000000042C8: D3D70064 0D93B994
	v_mfma_i32_16x16x32_i8 v[100:103], a[150:151], v[222:223], v[100:103]// 0000000042D0: D3D70064 0D93BD96
	v_mfma_i32_16x16x32_i8 v[100:103], a[152:153], v[224:225], v[100:103]// 0000000042D8: D3D70064 0D93C198
	v_mfma_i32_16x16x32_i8 v[100:103], a[154:155], v[226:227], v[100:103]// 0000000042E0: D3D70064 0D93C59A
	buffer_load_dwordx4 a[76:79], v38, s[24:27], 0 offen offset:3072// 0000000042E8: E05C1C00 80864C26
	v_mfma_i32_16x16x32_i8 v[100:103], a[156:157], v[228:229], v[100:103]// 0000000042F0: D3D70064 0D93C99C
	v_mfma_i32_16x16x32_i8 v[100:103], a[158:159], v[230:231], v[100:103]// 0000000042F8: D3D70064 0D93CD9E
	s_add_u32 s60, 0x200, s80                                  // 000000004300: 803C50FF 00000200
	s_cmp_lt_u32 s60, s81                                      // 000000004308: BF0A513C
	s_cselect_b32 s57, s57, 0                                  // 00000000430C: 85398039
	s_add_u32 s60, 0x200, s80                                  // 000000004310: 803C50FF 00000200
	s_cmp_lt_u32 s60, s81                                      // 000000004318: BF0A513C
	s_cselect_b32 s58, s58, 0                                  // 00000000431C: 853A803A
	s_add_u32 s20, s57, s20                                    // 000000004320: 80141439
	s_addc_u32 s21, 0, s21                                     // 000000004324: 82151580
	s_add_u32 s24, s58, s24                                    // 000000004328: 8018183A
	s_addc_u32 s25, 0, s25                                     // 00000000432C: 82191980
	s_add_u32 s92, s90, s92                                    // 000000004330: 805C5C5A
	s_addc_u32 s93, 0, s93                                     // 000000004334: 825D5D80
	s_addk_i32 s80, 0x100                                      // 000000004338: B7500100
	s_cmp_lt_i32 s80, s81                                      // 00000000433C: BF045150
	s_cbranch_scc0 label_0612                                  // 000000004340: BF840001
	s_branch label_025D                                        // 000000004344: BF82FC4B

0000000000004348 <label_0612>:
	s_mov_b32 s36, -1                                          // 000000004348: BEA400C1
	s_mov_b32 s37, -1                                          // 00000000434C: BEA500C1
	s_mov_b64 s[60:61], 0                                      // 000000004350: BEBC0180
	s_cmp_lt_u32 s82, s66                                      // 000000004354: BF0A4252
	s_cselect_b64 s[20:21], s[36:37], s[60:61]                 // 000000004358: 85943C24
	s_cmp_lt_u32 s83, s66                                      // 00000000435C: BF0A4253
	s_cselect_b64 s[22:23], s[36:37], s[60:61]                 // 000000004360: 85963C24
	s_cmp_lt_u32 s84, s66                                      // 000000004364: BF0A4254
	s_cselect_b64 s[24:25], s[36:37], s[60:61]                 // 000000004368: 85983C24
	s_cmp_lt_u32 s85, s66                                      // 00000000436C: BF0A4255
	s_cselect_b64 s[26:27], s[36:37], s[60:61]                 // 000000004370: 859A3C24
	s_cmp_lt_u32 s86, s66                                      // 000000004374: BF0A4256
	s_cselect_b64 s[28:29], s[36:37], s[60:61]                 // 000000004378: 859C3C24
	s_cmp_lt_u32 s87, s66                                      // 00000000437C: BF0A4257
	s_cselect_b64 s[30:31], s[36:37], s[60:61]                 // 000000004380: 859E3C24
	s_cmp_lt_u32 s88, s66                                      // 000000004384: BF0A4258
	s_cselect_b64 s[32:33], s[36:37], s[60:61]                 // 000000004388: 85A03C24
	s_cmp_lt_u32 s89, s66                                      // 00000000438C: BF0A4259
	s_cselect_b64 s[34:35], s[36:37], s[60:61]                 // 000000004390: 85A23C24
	v_cvt_f32_i32_e32 v128, v128                               // 000000004394: 7F000B80
	v_cvt_f32_i32_e32 v129, v129                               // 000000004398: 7F020B81
	v_cvt_f32_i32_e32 v130, v130                               // 00000000439C: 7F040B82
	v_cvt_f32_i32_e32 v131, v131                               // 0000000043A0: 7F060B83
	v_mul_f32_e32 v128, v14, v128                              // 0000000043A4: 0B01010E
	v_mul_f32_e32 v129, v14, v129                              // 0000000043A8: 0B03030E
	v_mul_f32_e32 v130, v14, v130                              // 0000000043AC: 0B05050E
	v_mul_f32_e32 v131, v14, v131                              // 0000000043B0: 0B07070E
	v_mul_f32_dpp v128, v16, v128 row_newbcast:0 row_mask:0xf bank_mask:0xf// 0000000043B4: 0B0100FA FF015010
	v_mul_f32_dpp v129, v16, v129 row_newbcast:1 row_mask:0xf bank_mask:0xf// 0000000043BC: 0B0302FA FF015110
	v_mul_f32_dpp v130, v16, v130 row_newbcast:2 row_mask:0xf bank_mask:0xf// 0000000043C4: 0B0504FA FF015210
	v_mul_f32_dpp v131, v16, v131 row_newbcast:3 row_mask:0xf bank_mask:0xf// 0000000043CC: 0B0706FA FF015310
	v_cvt_f32_i32_e32 v132, v132                               // 0000000043D4: 7F080B84
	v_cvt_f32_i32_e32 v133, v133                               // 0000000043D8: 7F0A0B85
	v_cvt_f32_i32_e32 v134, v134                               // 0000000043DC: 7F0C0B86
	v_cvt_f32_i32_e32 v135, v135                               // 0000000043E0: 7F0E0B87
	v_mul_f32_e32 v132, v15, v132                              // 0000000043E4: 0B09090F
	v_mul_f32_e32 v133, v15, v133                              // 0000000043E8: 0B0B0B0F
	v_mul_f32_e32 v134, v15, v134                              // 0000000043EC: 0B0D0D0F
	v_mul_f32_e32 v135, v15, v135                              // 0000000043F0: 0B0F0F0F
	v_mul_f32_dpp v132, v16, v132 row_newbcast:0 row_mask:0xf bank_mask:0xf// 0000000043F4: 0B0908FA FF015010
	v_mul_f32_dpp v133, v16, v133 row_newbcast:1 row_mask:0xf bank_mask:0xf// 0000000043FC: 0B0B0AFA FF015110
	v_mul_f32_dpp v134, v16, v134 row_newbcast:2 row_mask:0xf bank_mask:0xf// 000000004404: 0B0D0CFA FF015210
	v_mul_f32_dpp v135, v16, v135 row_newbcast:3 row_mask:0xf bank_mask:0xf// 00000000440C: 0B0F0EFA FF015310
	v_cvt_f32_i32_e32 v136, v136                               // 000000004414: 7F100B88
	v_cvt_f32_i32_e32 v137, v137                               // 000000004418: 7F120B89
	v_cvt_f32_i32_e32 v138, v138                               // 00000000441C: 7F140B8A
	v_cvt_f32_i32_e32 v139, v139                               // 000000004420: 7F160B8B
	v_mul_f32_e32 v136, v14, v136                              // 000000004424: 0B11110E
	v_mul_f32_e32 v137, v14, v137                              // 000000004428: 0B13130E
	v_mul_f32_e32 v138, v14, v138                              // 00000000442C: 0B15150E
	v_mul_f32_e32 v139, v14, v139                              // 000000004430: 0B17170E
	v_mul_f32_dpp v136, v16, v136 row_newbcast:4 row_mask:0xf bank_mask:0xf// 000000004434: 0B1110FA FF015410
	v_mul_f32_dpp v137, v16, v137 row_newbcast:5 row_mask:0xf bank_mask:0xf// 00000000443C: 0B1312FA FF015510
	v_mul_f32_dpp v138, v16, v138 row_newbcast:6 row_mask:0xf bank_mask:0xf// 000000004444: 0B1514FA FF015610
	v_mul_f32_dpp v139, v16, v139 row_newbcast:7 row_mask:0xf bank_mask:0xf// 00000000444C: 0B1716FA FF015710
	v_cvt_f32_i32_e32 v140, v140                               // 000000004454: 7F180B8C
	v_cvt_f32_i32_e32 v141, v141                               // 000000004458: 7F1A0B8D
	v_cvt_f32_i32_e32 v142, v142                               // 00000000445C: 7F1C0B8E
	v_cvt_f32_i32_e32 v143, v143                               // 000000004460: 7F1E0B8F
	v_mul_f32_e32 v140, v15, v140                              // 000000004464: 0B19190F
	v_mul_f32_e32 v141, v15, v141                              // 000000004468: 0B1B1B0F
	v_mul_f32_e32 v142, v15, v142                              // 00000000446C: 0B1D1D0F
	v_mul_f32_e32 v143, v15, v143                              // 000000004470: 0B1F1F0F
	v_mul_f32_dpp v140, v16, v140 row_newbcast:4 row_mask:0xf bank_mask:0xf// 000000004474: 0B1918FA FF015410
	v_mul_f32_dpp v141, v16, v141 row_newbcast:5 row_mask:0xf bank_mask:0xf// 00000000447C: 0B1B1AFA FF015510
	v_mul_f32_dpp v142, v16, v142 row_newbcast:6 row_mask:0xf bank_mask:0xf// 000000004484: 0B1D1CFA FF015610
	v_mul_f32_dpp v143, v16, v143 row_newbcast:7 row_mask:0xf bank_mask:0xf// 00000000448C: 0B1F1EFA FF015710
	v_cvt_f32_i32_e32 v144, v144                               // 000000004494: 7F200B90
	v_cvt_f32_i32_e32 v145, v145                               // 000000004498: 7F220B91
	v_cvt_f32_i32_e32 v146, v146                               // 00000000449C: 7F240B92
	v_cvt_f32_i32_e32 v147, v147                               // 0000000044A0: 7F260B93
	v_mul_f32_e32 v144, v14, v144                              // 0000000044A4: 0B21210E
	v_mul_f32_e32 v145, v14, v145                              // 0000000044A8: 0B23230E
	v_mul_f32_e32 v146, v14, v146                              // 0000000044AC: 0B25250E
	v_mul_f32_e32 v147, v14, v147                              // 0000000044B0: 0B27270E
	v_mul_f32_dpp v144, v16, v144 row_newbcast:8 row_mask:0xf bank_mask:0xf// 0000000044B4: 0B2120FA FF015810
	v_mul_f32_dpp v145, v16, v145 row_newbcast:9 row_mask:0xf bank_mask:0xf// 0000000044BC: 0B2322FA FF015910
	v_mul_f32_dpp v146, v16, v146 row_newbcast:10 row_mask:0xf bank_mask:0xf// 0000000044C4: 0B2524FA FF015A10
	v_mul_f32_dpp v147, v16, v147 row_newbcast:11 row_mask:0xf bank_mask:0xf// 0000000044CC: 0B2726FA FF015B10
	v_cvt_f32_i32_e32 v148, v148                               // 0000000044D4: 7F280B94
	v_cvt_f32_i32_e32 v149, v149                               // 0000000044D8: 7F2A0B95
	v_cvt_f32_i32_e32 v150, v150                               // 0000000044DC: 7F2C0B96
	v_cvt_f32_i32_e32 v151, v151                               // 0000000044E0: 7F2E0B97
	v_mul_f32_e32 v148, v15, v148                              // 0000000044E4: 0B29290F
	v_mul_f32_e32 v149, v15, v149                              // 0000000044E8: 0B2B2B0F
	v_mul_f32_e32 v150, v15, v150                              // 0000000044EC: 0B2D2D0F
	v_mul_f32_e32 v151, v15, v151                              // 0000000044F0: 0B2F2F0F
	v_mul_f32_dpp v148, v16, v148 row_newbcast:8 row_mask:0xf bank_mask:0xf// 0000000044F4: 0B2928FA FF015810
	v_mul_f32_dpp v149, v16, v149 row_newbcast:9 row_mask:0xf bank_mask:0xf// 0000000044FC: 0B2B2AFA FF015910
	v_mul_f32_dpp v150, v16, v150 row_newbcast:10 row_mask:0xf bank_mask:0xf// 000000004504: 0B2D2CFA FF015A10
	v_mul_f32_dpp v151, v16, v151 row_newbcast:11 row_mask:0xf bank_mask:0xf// 00000000450C: 0B2F2EFA FF015B10
	v_cvt_f32_i32_e32 v152, v152                               // 000000004514: 7F300B98
	v_cvt_f32_i32_e32 v153, v153                               // 000000004518: 7F320B99
	v_cvt_f32_i32_e32 v154, v154                               // 00000000451C: 7F340B9A
	v_cvt_f32_i32_e32 v155, v155                               // 000000004520: 7F360B9B
	v_mul_f32_e32 v152, v14, v152                              // 000000004524: 0B31310E
	v_mul_f32_e32 v153, v14, v153                              // 000000004528: 0B33330E
	v_mul_f32_e32 v154, v14, v154                              // 00000000452C: 0B35350E
	v_mul_f32_e32 v155, v14, v155                              // 000000004530: 0B37370E
	v_mul_f32_dpp v152, v16, v152 row_newbcast:12 row_mask:0xf bank_mask:0xf// 000000004534: 0B3130FA FF015C10
	v_mul_f32_dpp v153, v16, v153 row_newbcast:13 row_mask:0xf bank_mask:0xf// 00000000453C: 0B3332FA FF015D10
	v_mul_f32_dpp v154, v16, v154 row_newbcast:14 row_mask:0xf bank_mask:0xf// 000000004544: 0B3534FA FF015E10
	v_mul_f32_dpp v155, v16, v155 row_newbcast:15 row_mask:0xf bank_mask:0xf// 00000000454C: 0B3736FA FF015F10
	v_cvt_f32_i32_e32 v156, v156                               // 000000004554: 7F380B9C
	v_cvt_f32_i32_e32 v157, v157                               // 000000004558: 7F3A0B9D
	v_cvt_f32_i32_e32 v158, v158                               // 00000000455C: 7F3C0B9E
	v_cvt_f32_i32_e32 v159, v159                               // 000000004560: 7F3E0B9F
	v_mul_f32_e32 v156, v15, v156                              // 000000004564: 0B39390F
	v_mul_f32_e32 v157, v15, v157                              // 000000004568: 0B3B3B0F
	v_mul_f32_e32 v158, v15, v158                              // 00000000456C: 0B3D3D0F
	v_mul_f32_e32 v159, v15, v159                              // 000000004570: 0B3F3F0F
	v_mul_f32_dpp v156, v16, v156 row_newbcast:12 row_mask:0xf bank_mask:0xf// 000000004574: 0B3938FA FF015C10
	v_mul_f32_dpp v157, v16, v157 row_newbcast:13 row_mask:0xf bank_mask:0xf// 00000000457C: 0B3B3AFA FF015D10
	v_mul_f32_dpp v158, v16, v158 row_newbcast:14 row_mask:0xf bank_mask:0xf// 000000004584: 0B3D3CFA FF015E10
	v_mul_f32_dpp v159, v16, v159 row_newbcast:15 row_mask:0xf bank_mask:0xf// 00000000458C: 0B3F3EFA FF015F10
	v_cvt_f32_i32_e32 v160, v160                               // 000000004594: 7F400BA0
	v_cvt_f32_i32_e32 v161, v161                               // 000000004598: 7F420BA1
	v_cvt_f32_i32_e32 v162, v162                               // 00000000459C: 7F440BA2
	v_cvt_f32_i32_e32 v163, v163                               // 0000000045A0: 7F460BA3
	v_mul_f32_e32 v160, v14, v160                              // 0000000045A4: 0B41410E
	v_mul_f32_e32 v161, v14, v161                              // 0000000045A8: 0B43430E
	v_mul_f32_e32 v162, v14, v162                              // 0000000045AC: 0B45450E
	v_mul_f32_e32 v163, v14, v163                              // 0000000045B0: 0B47470E
	v_mul_f32_dpp v160, v17, v160 row_newbcast:0 row_mask:0xf bank_mask:0xf// 0000000045B4: 0B4140FA FF015011
	v_mul_f32_dpp v161, v17, v161 row_newbcast:1 row_mask:0xf bank_mask:0xf// 0000000045BC: 0B4342FA FF015111
	v_mul_f32_dpp v162, v17, v162 row_newbcast:2 row_mask:0xf bank_mask:0xf// 0000000045C4: 0B4544FA FF015211
	v_mul_f32_dpp v163, v17, v163 row_newbcast:3 row_mask:0xf bank_mask:0xf// 0000000045CC: 0B4746FA FF015311
	v_cvt_f32_i32_e32 v164, v164                               // 0000000045D4: 7F480BA4
	v_cvt_f32_i32_e32 v165, v165                               // 0000000045D8: 7F4A0BA5
	v_cvt_f32_i32_e32 v166, v166                               // 0000000045DC: 7F4C0BA6
	v_cvt_f32_i32_e32 v167, v167                               // 0000000045E0: 7F4E0BA7
	v_mul_f32_e32 v164, v15, v164                              // 0000000045E4: 0B49490F
	v_mul_f32_e32 v165, v15, v165                              // 0000000045E8: 0B4B4B0F
	v_mul_f32_e32 v166, v15, v166                              // 0000000045EC: 0B4D4D0F
	v_mul_f32_e32 v167, v15, v167                              // 0000000045F0: 0B4F4F0F
	v_mul_f32_dpp v164, v17, v164 row_newbcast:0 row_mask:0xf bank_mask:0xf// 0000000045F4: 0B4948FA FF015011
	v_mul_f32_dpp v165, v17, v165 row_newbcast:1 row_mask:0xf bank_mask:0xf// 0000000045FC: 0B4B4AFA FF015111
	v_mul_f32_dpp v166, v17, v166 row_newbcast:2 row_mask:0xf bank_mask:0xf// 000000004604: 0B4D4CFA FF015211
	v_mul_f32_dpp v167, v17, v167 row_newbcast:3 row_mask:0xf bank_mask:0xf// 00000000460C: 0B4F4EFA FF015311
	v_cvt_f32_i32_e32 v64, v64                                 // 000000004614: 7E800B40
	v_cvt_f32_i32_e32 v65, v65                                 // 000000004618: 7E820B41
	v_cvt_f32_i32_e32 v66, v66                                 // 00000000461C: 7E840B42
	v_cvt_f32_i32_e32 v67, v67                                 // 000000004620: 7E860B43
	v_mul_f32_e32 v64, v14, v64                                // 000000004624: 0A80810E
	v_mul_f32_e32 v65, v14, v65                                // 000000004628: 0A82830E
	v_mul_f32_e32 v66, v14, v66                                // 00000000462C: 0A84850E
	v_mul_f32_e32 v67, v14, v67                                // 000000004630: 0A86870E
	v_mul_f32_dpp v64, v47, v64 row_newbcast:0 row_mask:0xf bank_mask:0xf// 000000004634: 0A8080FA FF01502F
	v_mul_f32_dpp v65, v47, v65 row_newbcast:1 row_mask:0xf bank_mask:0xf// 00000000463C: 0A8282FA FF01512F
	v_mul_f32_dpp v66, v47, v66 row_newbcast:2 row_mask:0xf bank_mask:0xf// 000000004644: 0A8484FA FF01522F
	v_mul_f32_dpp v67, v47, v67 row_newbcast:3 row_mask:0xf bank_mask:0xf// 00000000464C: 0A8686FA FF01532F
	v_cvt_f32_i32_e32 v68, v68                                 // 000000004654: 7E880B44
	v_cvt_f32_i32_e32 v69, v69                                 // 000000004658: 7E8A0B45
	v_cvt_f32_i32_e32 v70, v70                                 // 00000000465C: 7E8C0B46
	v_cvt_f32_i32_e32 v71, v71                                 // 000000004660: 7E8E0B47
	v_mul_f32_e32 v68, v15, v68                                // 000000004664: 0A88890F
	v_mul_f32_e32 v69, v15, v69                                // 000000004668: 0A8A8B0F
	v_mul_f32_e32 v70, v15, v70                                // 00000000466C: 0A8C8D0F
	v_mul_f32_e32 v71, v15, v71                                // 000000004670: 0A8E8F0F
	v_mul_f32_dpp v68, v47, v68 row_newbcast:0 row_mask:0xf bank_mask:0xf// 000000004674: 0A8888FA FF01502F
	v_mul_f32_dpp v69, v47, v69 row_newbcast:1 row_mask:0xf bank_mask:0xf// 00000000467C: 0A8A8AFA FF01512F
	v_mul_f32_dpp v70, v47, v70 row_newbcast:2 row_mask:0xf bank_mask:0xf// 000000004684: 0A8C8CFA FF01522F
	v_mul_f32_dpp v71, v47, v71 row_newbcast:3 row_mask:0xf bank_mask:0xf// 00000000468C: 0A8E8EFA FF01532F
	v_cvt_f32_i32_e32 v72, v72                                 // 000000004694: 7E900B48
	v_cvt_f32_i32_e32 v73, v73                                 // 000000004698: 7E920B49
	v_cvt_f32_i32_e32 v74, v74                                 // 00000000469C: 7E940B4A
	v_cvt_f32_i32_e32 v75, v75                                 // 0000000046A0: 7E960B4B
	v_mul_f32_e32 v72, v14, v72                                // 0000000046A4: 0A90910E
	v_mul_f32_e32 v73, v14, v73                                // 0000000046A8: 0A92930E
	v_mul_f32_e32 v74, v14, v74                                // 0000000046AC: 0A94950E
	v_mul_f32_e32 v75, v14, v75                                // 0000000046B0: 0A96970E
	v_mul_f32_dpp v72, v47, v72 row_newbcast:4 row_mask:0xf bank_mask:0xf// 0000000046B4: 0A9090FA FF01542F
	v_mul_f32_dpp v73, v47, v73 row_newbcast:5 row_mask:0xf bank_mask:0xf// 0000000046BC: 0A9292FA FF01552F
	v_mul_f32_dpp v74, v47, v74 row_newbcast:6 row_mask:0xf bank_mask:0xf// 0000000046C4: 0A9494FA FF01562F
	v_mul_f32_dpp v75, v47, v75 row_newbcast:7 row_mask:0xf bank_mask:0xf// 0000000046CC: 0A9696FA FF01572F
	v_cvt_f32_i32_e32 v76, v76                                 // 0000000046D4: 7E980B4C
	v_cvt_f32_i32_e32 v77, v77                                 // 0000000046D8: 7E9A0B4D
	v_cvt_f32_i32_e32 v78, v78                                 // 0000000046DC: 7E9C0B4E
	v_cvt_f32_i32_e32 v79, v79                                 // 0000000046E0: 7E9E0B4F
	v_mul_f32_e32 v76, v15, v76                                // 0000000046E4: 0A98990F
	v_mul_f32_e32 v77, v15, v77                                // 0000000046E8: 0A9A9B0F
	v_mul_f32_e32 v78, v15, v78                                // 0000000046EC: 0A9C9D0F
	v_mul_f32_e32 v79, v15, v79                                // 0000000046F0: 0A9E9F0F
	v_mul_f32_dpp v76, v47, v76 row_newbcast:4 row_mask:0xf bank_mask:0xf// 0000000046F4: 0A9898FA FF01542F
	v_mul_f32_dpp v77, v47, v77 row_newbcast:5 row_mask:0xf bank_mask:0xf// 0000000046FC: 0A9A9AFA FF01552F
	v_mul_f32_dpp v78, v47, v78 row_newbcast:6 row_mask:0xf bank_mask:0xf// 000000004704: 0A9C9CFA FF01562F
	v_mul_f32_dpp v79, v47, v79 row_newbcast:7 row_mask:0xf bank_mask:0xf// 00000000470C: 0A9E9EFA FF01572F
	v_cvt_f32_i32_e32 v80, v80                                 // 000000004714: 7EA00B50
	v_cvt_f32_i32_e32 v81, v81                                 // 000000004718: 7EA20B51
	v_cvt_f32_i32_e32 v82, v82                                 // 00000000471C: 7EA40B52
	v_cvt_f32_i32_e32 v83, v83                                 // 000000004720: 7EA60B53
	v_mul_f32_e32 v80, v14, v80                                // 000000004724: 0AA0A10E
	v_mul_f32_e32 v81, v14, v81                                // 000000004728: 0AA2A30E
	v_mul_f32_e32 v82, v14, v82                                // 00000000472C: 0AA4A50E
	v_mul_f32_e32 v83, v14, v83                                // 000000004730: 0AA6A70E
	v_mul_f32_dpp v80, v47, v80 row_newbcast:8 row_mask:0xf bank_mask:0xf// 000000004734: 0AA0A0FA FF01582F
	v_mul_f32_dpp v81, v47, v81 row_newbcast:9 row_mask:0xf bank_mask:0xf// 00000000473C: 0AA2A2FA FF01592F
	v_mul_f32_dpp v82, v47, v82 row_newbcast:10 row_mask:0xf bank_mask:0xf// 000000004744: 0AA4A4FA FF015A2F
	v_mul_f32_dpp v83, v47, v83 row_newbcast:11 row_mask:0xf bank_mask:0xf// 00000000474C: 0AA6A6FA FF015B2F
	v_cvt_f32_i32_e32 v84, v84                                 // 000000004754: 7EA80B54
	v_cvt_f32_i32_e32 v85, v85                                 // 000000004758: 7EAA0B55
	v_cvt_f32_i32_e32 v86, v86                                 // 00000000475C: 7EAC0B56
	v_cvt_f32_i32_e32 v87, v87                                 // 000000004760: 7EAE0B57
	v_mul_f32_e32 v84, v15, v84                                // 000000004764: 0AA8A90F
	v_mul_f32_e32 v85, v15, v85                                // 000000004768: 0AAAAB0F
	v_mul_f32_e32 v86, v15, v86                                // 00000000476C: 0AACAD0F
	v_mul_f32_e32 v87, v15, v87                                // 000000004770: 0AAEAF0F
	v_mul_f32_dpp v84, v47, v84 row_newbcast:8 row_mask:0xf bank_mask:0xf// 000000004774: 0AA8A8FA FF01582F
	v_mul_f32_dpp v85, v47, v85 row_newbcast:9 row_mask:0xf bank_mask:0xf// 00000000477C: 0AAAAAFA FF01592F
	v_mul_f32_dpp v86, v47, v86 row_newbcast:10 row_mask:0xf bank_mask:0xf// 000000004784: 0AACACFA FF015A2F
	v_mul_f32_dpp v87, v47, v87 row_newbcast:11 row_mask:0xf bank_mask:0xf// 00000000478C: 0AAEAEFA FF015B2F
	v_cvt_f32_i32_e32 v88, v88                                 // 000000004794: 7EB00B58
	v_cvt_f32_i32_e32 v89, v89                                 // 000000004798: 7EB20B59
	v_cvt_f32_i32_e32 v90, v90                                 // 00000000479C: 7EB40B5A
	v_cvt_f32_i32_e32 v91, v91                                 // 0000000047A0: 7EB60B5B
	v_mul_f32_e32 v88, v14, v88                                // 0000000047A4: 0AB0B10E
	v_mul_f32_e32 v89, v14, v89                                // 0000000047A8: 0AB2B30E
	v_mul_f32_e32 v90, v14, v90                                // 0000000047AC: 0AB4B50E
	v_mul_f32_e32 v91, v14, v91                                // 0000000047B0: 0AB6B70E
	v_mul_f32_dpp v88, v47, v88 row_newbcast:12 row_mask:0xf bank_mask:0xf// 0000000047B4: 0AB0B0FA FF015C2F
	v_mul_f32_dpp v89, v47, v89 row_newbcast:13 row_mask:0xf bank_mask:0xf// 0000000047BC: 0AB2B2FA FF015D2F
	v_mul_f32_dpp v90, v47, v90 row_newbcast:14 row_mask:0xf bank_mask:0xf// 0000000047C4: 0AB4B4FA FF015E2F
	v_mul_f32_dpp v91, v47, v91 row_newbcast:15 row_mask:0xf bank_mask:0xf// 0000000047CC: 0AB6B6FA FF015F2F
	v_cvt_f32_i32_e32 v92, v92                                 // 0000000047D4: 7EB80B5C
	v_cvt_f32_i32_e32 v93, v93                                 // 0000000047D8: 7EBA0B5D
	v_cvt_f32_i32_e32 v94, v94                                 // 0000000047DC: 7EBC0B5E
	v_cvt_f32_i32_e32 v95, v95                                 // 0000000047E0: 7EBE0B5F
	v_mul_f32_e32 v92, v15, v92                                // 0000000047E4: 0AB8B90F
	v_mul_f32_e32 v93, v15, v93                                // 0000000047E8: 0ABABB0F
	v_mul_f32_e32 v94, v15, v94                                // 0000000047EC: 0ABCBD0F
	v_mul_f32_e32 v95, v15, v95                                // 0000000047F0: 0ABEBF0F
	v_mul_f32_dpp v92, v47, v92 row_newbcast:12 row_mask:0xf bank_mask:0xf// 0000000047F4: 0AB8B8FA FF015C2F
	v_mul_f32_dpp v93, v47, v93 row_newbcast:13 row_mask:0xf bank_mask:0xf// 0000000047FC: 0ABABAFA FF015D2F
	v_mul_f32_dpp v94, v47, v94 row_newbcast:14 row_mask:0xf bank_mask:0xf// 000000004804: 0ABCBCFA FF015E2F
	v_mul_f32_dpp v95, v47, v95 row_newbcast:15 row_mask:0xf bank_mask:0xf// 00000000480C: 0ABEBEFA FF015F2F
	v_cvt_f32_i32_e32 v96, v96                                 // 000000004814: 7EC00B60
	v_cvt_f32_i32_e32 v97, v97                                 // 000000004818: 7EC20B61
	v_cvt_f32_i32_e32 v98, v98                                 // 00000000481C: 7EC40B62
	v_cvt_f32_i32_e32 v99, v99                                 // 000000004820: 7EC60B63
	v_mul_f32_e32 v96, v14, v96                                // 000000004824: 0AC0C10E
	v_mul_f32_e32 v97, v14, v97                                // 000000004828: 0AC2C30E
	v_mul_f32_e32 v98, v14, v98                                // 00000000482C: 0AC4C50E
	v_mul_f32_e32 v99, v14, v99                                // 000000004830: 0AC6C70E
	v_mul_f32_dpp v96, v48, v96 row_newbcast:0 row_mask:0xf bank_mask:0xf// 000000004834: 0AC0C0FA FF015030
	v_mul_f32_dpp v97, v48, v97 row_newbcast:1 row_mask:0xf bank_mask:0xf// 00000000483C: 0AC2C2FA FF015130
	v_mul_f32_dpp v98, v48, v98 row_newbcast:2 row_mask:0xf bank_mask:0xf// 000000004844: 0AC4C4FA FF015230
	v_mul_f32_dpp v99, v48, v99 row_newbcast:3 row_mask:0xf bank_mask:0xf// 00000000484C: 0AC6C6FA FF015330
	v_cvt_f32_i32_e32 v100, v100                               // 000000004854: 7EC80B64
	v_cvt_f32_i32_e32 v101, v101                               // 000000004858: 7ECA0B65
	v_cvt_f32_i32_e32 v102, v102                               // 00000000485C: 7ECC0B66
	v_cvt_f32_i32_e32 v103, v103                               // 000000004860: 7ECE0B67
	v_mul_f32_e32 v100, v15, v100                              // 000000004864: 0AC8C90F
	v_mul_f32_e32 v101, v15, v101                              // 000000004868: 0ACACB0F
	v_mul_f32_e32 v102, v15, v102                              // 00000000486C: 0ACCCD0F
	v_mul_f32_e32 v103, v15, v103                              // 000000004870: 0ACECF0F
	v_mul_f32_dpp v100, v48, v100 row_newbcast:0 row_mask:0xf bank_mask:0xf// 000000004874: 0AC8C8FA FF015030
	v_mul_f32_dpp v101, v48, v101 row_newbcast:1 row_mask:0xf bank_mask:0xf// 00000000487C: 0ACACAFA FF015130
	v_mul_f32_dpp v102, v48, v102 row_newbcast:2 row_mask:0xf bank_mask:0xf// 000000004884: 0ACCCCFA FF015230
	v_mul_f32_dpp v103, v48, v103 row_newbcast:3 row_mask:0xf bank_mask:0xf// 00000000488C: 0ACECEFA FF015330
	s_waitcnt vmcnt(16)                                        // 000000004894: BF8C4F70
	buffer_load_dwordx4 a[0:3], v39, s[12:15], 0 offen         // 000000004898: E05C1000 80830027
	v_mul_f32_e32 v50, v128, v128                              // 0000000048A0: 0A650180
	v_mul_f32_e32 v51, v129, v129                              // 0000000048A4: 0A670381
	v_mul_f32_e32 v52, v130, v130                              // 0000000048A8: 0A690582
	v_mul_f32_e32 v53, v131, v131                              // 0000000048AC: 0A6B0783
	v_fma_f32 v50, v50, s77, v1                                // 0000000048B0: D1CB0032 04049B32
	v_fma_f32 v51, v51, s77, v1                                // 0000000048B8: D1CB0033 04049B33
	v_fma_f32 v52, v52, s77, v1                                // 0000000048C0: D1CB0034 04049B34
	v_fma_f32 v53, v53, s77, v1                                // 0000000048C8: D1CB0035 04049B35
	v_mul_f32_e32 v50, v50, v128                               // 0000000048D0: 0A650132
	v_mul_f32_e32 v51, v51, v129                               // 0000000048D4: 0A670333
	v_mul_f32_e32 v52, v52, v130                               // 0000000048D8: 0A690534
	v_mul_f32_e32 v53, v53, v131                               // 0000000048DC: 0A6B0735
	v_mul_f32_e64 v50, v50, s6                                 // 0000000048E0: D1050032 00000D32
	v_mul_f32_e64 v51, v51, s6                                 // 0000000048E8: D1050033 00000D33
	v_mul_f32_e64 v52, v52, s6                                 // 0000000048F0: D1050034 00000D34
	v_mul_f32_e64 v53, v53, s6                                 // 0000000048F8: D1050035 00000D35
	v_exp_f32_e32 v50, v50                                     // 000000004900: 7E644132
	v_exp_f32_e32 v51, v51                                     // 000000004904: 7E664133
	v_exp_f32_e32 v52, v52                                     // 000000004908: 7E684134
	v_exp_f32_e32 v53, v53                                     // 00000000490C: 7E6A4135
	buffer_load_dwordx4 a[4:7], v40, s[12:15], 0 offen         // 000000004910: E05C1000 80830428
	v_add_f32_e64 v50, v50, 1.0                                // 000000004918: D1010032 0001E532
	v_add_f32_e64 v51, v51, 1.0                                // 000000004920: D1010033 0001E533
	v_add_f32_e64 v52, v52, 1.0                                // 000000004928: D1010034 0001E534
	v_add_f32_e64 v53, v53, 1.0                                // 000000004930: D1010035 0001E535
	v_rcp_f32_e32 v50, v50                                     // 000000004938: 7E644532
	v_rcp_f32_e32 v51, v51                                     // 00000000493C: 7E664533
	v_rcp_f32_e32 v52, v52                                     // 000000004940: 7E684534
	v_rcp_f32_e32 v53, v53                                     // 000000004944: 7E6A4535
	v_mul_f32_e32 v128, v128, v50                              // 000000004948: 0B006580
	v_mul_f32_e32 v129, v129, v51                              // 00000000494C: 0B026781
	v_mul_f32_e32 v130, v130, v52                              // 000000004950: 0B046982
	v_mul_f32_e32 v131, v131, v53                              // 000000004954: 0B066B83
	v_mul_f32_e32 v128, v128, v64                              // 000000004958: 0B008180
	v_mul_f32_e32 v129, v129, v65                              // 00000000495C: 0B028381
	v_mul_f32_e32 v130, v130, v66                              // 000000004960: 0B048582
	v_mul_f32_e32 v131, v131, v67                              // 000000004964: 0B068783
	buffer_load_dwordx4 a[8:11], v41, s[12:15], 0 offen        // 000000004968: E05C1000 80830829
	v_mul_f32_e32 v50, v132, v132                              // 000000004970: 0A650984
	v_mul_f32_e32 v51, v133, v133                              // 000000004974: 0A670B85
	v_mul_f32_e32 v52, v134, v134                              // 000000004978: 0A690D86
	v_mul_f32_e32 v53, v135, v135                              // 00000000497C: 0A6B0F87
	v_fma_f32 v50, v50, s77, v1                                // 000000004980: D1CB0032 04049B32
	v_fma_f32 v51, v51, s77, v1                                // 000000004988: D1CB0033 04049B33
	v_fma_f32 v52, v52, s77, v1                                // 000000004990: D1CB0034 04049B34
	v_fma_f32 v53, v53, s77, v1                                // 000000004998: D1CB0035 04049B35
	v_mul_f32_e32 v50, v50, v132                               // 0000000049A0: 0A650932
	v_mul_f32_e32 v51, v51, v133                               // 0000000049A4: 0A670B33
	v_mul_f32_e32 v52, v52, v134                               // 0000000049A8: 0A690D34
	v_mul_f32_e32 v53, v53, v135                               // 0000000049AC: 0A6B0F35
	v_mul_f32_e64 v50, v50, s6                                 // 0000000049B0: D1050032 00000D32
	v_mul_f32_e64 v51, v51, s6                                 // 0000000049B8: D1050033 00000D33
	v_mul_f32_e64 v52, v52, s6                                 // 0000000049C0: D1050034 00000D34
	v_mul_f32_e64 v53, v53, s6                                 // 0000000049C8: D1050035 00000D35
	v_exp_f32_e32 v50, v50                                     // 0000000049D0: 7E644132
	v_exp_f32_e32 v51, v51                                     // 0000000049D4: 7E664133
	v_exp_f32_e32 v52, v52                                     // 0000000049D8: 7E684134
	v_exp_f32_e32 v53, v53                                     // 0000000049DC: 7E6A4135
	buffer_load_dwordx4 a[12:15], v42, s[12:15], 0 offen       // 0000000049E0: E05C1000 80830C2A
	s_add_u32 s12, s78, s12                                    // 0000000049E8: 800C0C4E
	s_addc_u32 s13, 0, s13                                     // 0000000049EC: 820D0D80
	v_add_f32_e64 v50, v50, 1.0                                // 0000000049F0: D1010032 0001E532
	v_add_f32_e64 v51, v51, 1.0                                // 0000000049F8: D1010033 0001E533
	v_add_f32_e64 v52, v52, 1.0                                // 000000004A00: D1010034 0001E534
	v_add_f32_e64 v53, v53, 1.0                                // 000000004A08: D1010035 0001E535
	v_rcp_f32_e32 v50, v50                                     // 000000004A10: 7E644532
	v_rcp_f32_e32 v51, v51                                     // 000000004A14: 7E664533
	v_rcp_f32_e32 v52, v52                                     // 000000004A18: 7E684534
	v_rcp_f32_e32 v53, v53                                     // 000000004A1C: 7E6A4535
	v_mul_f32_e32 v132, v132, v50                              // 000000004A20: 0B086584
	v_mul_f32_e32 v133, v133, v51                              // 000000004A24: 0B0A6785
	v_mul_f32_e32 v134, v134, v52                              // 000000004A28: 0B0C6986
	v_mul_f32_e32 v135, v135, v53                              // 000000004A2C: 0B0E6B87
	v_mul_f32_e32 v132, v132, v68                              // 000000004A30: 0B088984
	v_mul_f32_e32 v133, v133, v69                              // 000000004A34: 0B0A8B85
	v_mul_f32_e32 v134, v134, v70                              // 000000004A38: 0B0C8D86
	v_mul_f32_e32 v135, v135, v71                              // 000000004A3C: 0B0E8F87
	s_waitcnt vmcnt(16)                                        // 000000004A40: BF8C4F70
	buffer_load_dwordx4 a[16:19], v39, s[12:15], 0 offen       // 000000004A44: E05C1000 80831027
	v_mul_f32_e32 v50, v136, v136                              // 000000004A4C: 0A651188
	v_mul_f32_e32 v51, v137, v137                              // 000000004A50: 0A671389
	v_mul_f32_e32 v52, v138, v138                              // 000000004A54: 0A69158A
	v_mul_f32_e32 v53, v139, v139                              // 000000004A58: 0A6B178B
	v_fma_f32 v50, v50, s77, v1                                // 000000004A5C: D1CB0032 04049B32
	v_fma_f32 v51, v51, s77, v1                                // 000000004A64: D1CB0033 04049B33
	v_fma_f32 v52, v52, s77, v1                                // 000000004A6C: D1CB0034 04049B34
	v_fma_f32 v53, v53, s77, v1                                // 000000004A74: D1CB0035 04049B35
	v_mul_f32_e32 v50, v50, v136                               // 000000004A7C: 0A651132
	v_mul_f32_e32 v51, v51, v137                               // 000000004A80: 0A671333
	v_mul_f32_e32 v52, v52, v138                               // 000000004A84: 0A691534
	v_mul_f32_e32 v53, v53, v139                               // 000000004A88: 0A6B1735
	v_mul_f32_e64 v50, v50, s6                                 // 000000004A8C: D1050032 00000D32
	v_mul_f32_e64 v51, v51, s6                                 // 000000004A94: D1050033 00000D33
	v_mul_f32_e64 v52, v52, s6                                 // 000000004A9C: D1050034 00000D34
	v_mul_f32_e64 v53, v53, s6                                 // 000000004AA4: D1050035 00000D35
	v_exp_f32_e32 v50, v50                                     // 000000004AAC: 7E644132
	v_exp_f32_e32 v51, v51                                     // 000000004AB0: 7E664133
	v_exp_f32_e32 v52, v52                                     // 000000004AB4: 7E684134
	v_exp_f32_e32 v53, v53                                     // 000000004AB8: 7E6A4135
	buffer_load_dwordx4 a[20:23], v40, s[12:15], 0 offen       // 000000004ABC: E05C1000 80831428
	v_add_f32_e64 v50, v50, 1.0                                // 000000004AC4: D1010032 0001E532
	v_add_f32_e64 v51, v51, 1.0                                // 000000004ACC: D1010033 0001E533
	v_add_f32_e64 v52, v52, 1.0                                // 000000004AD4: D1010034 0001E534
	v_add_f32_e64 v53, v53, 1.0                                // 000000004ADC: D1010035 0001E535
	v_rcp_f32_e32 v50, v50                                     // 000000004AE4: 7E644532
	v_rcp_f32_e32 v51, v51                                     // 000000004AE8: 7E664533
	v_rcp_f32_e32 v52, v52                                     // 000000004AEC: 7E684534
	v_rcp_f32_e32 v53, v53                                     // 000000004AF0: 7E6A4535
	v_mul_f32_e32 v136, v136, v50                              // 000000004AF4: 0B106588
	v_mul_f32_e32 v137, v137, v51                              // 000000004AF8: 0B126789
	v_mul_f32_e32 v138, v138, v52                              // 000000004AFC: 0B14698A
	v_mul_f32_e32 v139, v139, v53                              // 000000004B00: 0B166B8B
	v_mul_f32_e32 v136, v136, v72                              // 000000004B04: 0B109188
	v_mul_f32_e32 v137, v137, v73                              // 000000004B08: 0B129389
	v_mul_f32_e32 v138, v138, v74                              // 000000004B0C: 0B14958A
	v_mul_f32_e32 v139, v139, v75                              // 000000004B10: 0B16978B
	buffer_load_dwordx4 a[24:27], v41, s[12:15], 0 offen       // 000000004B14: E05C1000 80831829
	v_mul_f32_e32 v50, v140, v140                              // 000000004B1C: 0A65198C
	v_mul_f32_e32 v51, v141, v141                              // 000000004B20: 0A671B8D
	v_mul_f32_e32 v52, v142, v142                              // 000000004B24: 0A691D8E
	v_mul_f32_e32 v53, v143, v143                              // 000000004B28: 0A6B1F8F
	v_fma_f32 v50, v50, s77, v1                                // 000000004B2C: D1CB0032 04049B32
	v_fma_f32 v51, v51, s77, v1                                // 000000004B34: D1CB0033 04049B33
	v_fma_f32 v52, v52, s77, v1                                // 000000004B3C: D1CB0034 04049B34
	v_fma_f32 v53, v53, s77, v1                                // 000000004B44: D1CB0035 04049B35
	v_mul_f32_e32 v50, v50, v140                               // 000000004B4C: 0A651932
	v_mul_f32_e32 v51, v51, v141                               // 000000004B50: 0A671B33
	v_mul_f32_e32 v52, v52, v142                               // 000000004B54: 0A691D34
	v_mul_f32_e32 v53, v53, v143                               // 000000004B58: 0A6B1F35
	v_mul_f32_e64 v50, v50, s6                                 // 000000004B5C: D1050032 00000D32
	v_mul_f32_e64 v51, v51, s6                                 // 000000004B64: D1050033 00000D33
	v_mul_f32_e64 v52, v52, s6                                 // 000000004B6C: D1050034 00000D34
	v_mul_f32_e64 v53, v53, s6                                 // 000000004B74: D1050035 00000D35
	v_exp_f32_e32 v50, v50                                     // 000000004B7C: 7E644132
	v_exp_f32_e32 v51, v51                                     // 000000004B80: 7E664133
	v_exp_f32_e32 v52, v52                                     // 000000004B84: 7E684134
	v_exp_f32_e32 v53, v53                                     // 000000004B88: 7E6A4135
	buffer_load_dwordx4 a[28:31], v42, s[12:15], 0 offen       // 000000004B8C: E05C1000 80831C2A
	s_add_u32 s12, s78, s12                                    // 000000004B94: 800C0C4E
	s_addc_u32 s13, 0, s13                                     // 000000004B98: 820D0D80
	v_add_f32_e64 v50, v50, 1.0                                // 000000004B9C: D1010032 0001E532
	v_add_f32_e64 v51, v51, 1.0                                // 000000004BA4: D1010033 0001E533
	v_add_f32_e64 v52, v52, 1.0                                // 000000004BAC: D1010034 0001E534
	v_add_f32_e64 v53, v53, 1.0                                // 000000004BB4: D1010035 0001E535
	v_rcp_f32_e32 v50, v50                                     // 000000004BBC: 7E644532
	v_rcp_f32_e32 v51, v51                                     // 000000004BC0: 7E664533
	v_rcp_f32_e32 v52, v52                                     // 000000004BC4: 7E684534
	v_rcp_f32_e32 v53, v53                                     // 000000004BC8: 7E6A4535
	v_mul_f32_e32 v140, v140, v50                              // 000000004BCC: 0B18658C
	v_mul_f32_e32 v141, v141, v51                              // 000000004BD0: 0B1A678D
	v_mul_f32_e32 v142, v142, v52                              // 000000004BD4: 0B1C698E
	v_mul_f32_e32 v143, v143, v53                              // 000000004BD8: 0B1E6B8F
	v_mul_f32_e32 v140, v140, v76                              // 000000004BDC: 0B18998C
	v_mul_f32_e32 v141, v141, v77                              // 000000004BE0: 0B1A9B8D
	v_mul_f32_e32 v142, v142, v78                              // 000000004BE4: 0B1C9D8E
	v_mul_f32_e32 v143, v143, v79                              // 000000004BE8: 0B1E9F8F
	s_waitcnt vmcnt(16)                                        // 000000004BEC: BF8C4F70
	buffer_load_dwordx4 a[32:35], v39, s[12:15], 0 offen       // 000000004BF0: E05C1000 80832027
	v_mul_f32_e32 v50, v144, v144                              // 000000004BF8: 0A652190
	v_mul_f32_e32 v51, v145, v145                              // 000000004BFC: 0A672391
	v_mul_f32_e32 v52, v146, v146                              // 000000004C00: 0A692592
	v_mul_f32_e32 v53, v147, v147                              // 000000004C04: 0A6B2793
	v_fma_f32 v50, v50, s77, v1                                // 000000004C08: D1CB0032 04049B32
	v_fma_f32 v51, v51, s77, v1                                // 000000004C10: D1CB0033 04049B33
	v_fma_f32 v52, v52, s77, v1                                // 000000004C18: D1CB0034 04049B34
	v_fma_f32 v53, v53, s77, v1                                // 000000004C20: D1CB0035 04049B35
	v_mul_f32_e32 v50, v50, v144                               // 000000004C28: 0A652132
	v_mul_f32_e32 v51, v51, v145                               // 000000004C2C: 0A672333
	v_mul_f32_e32 v52, v52, v146                               // 000000004C30: 0A692534
	v_mul_f32_e32 v53, v53, v147                               // 000000004C34: 0A6B2735
	v_mul_f32_e64 v50, v50, s6                                 // 000000004C38: D1050032 00000D32
	v_mul_f32_e64 v51, v51, s6                                 // 000000004C40: D1050033 00000D33
	v_mul_f32_e64 v52, v52, s6                                 // 000000004C48: D1050034 00000D34
	v_mul_f32_e64 v53, v53, s6                                 // 000000004C50: D1050035 00000D35
	v_exp_f32_e32 v50, v50                                     // 000000004C58: 7E644132
	v_exp_f32_e32 v51, v51                                     // 000000004C5C: 7E664133
	v_exp_f32_e32 v52, v52                                     // 000000004C60: 7E684134
	v_exp_f32_e32 v53, v53                                     // 000000004C64: 7E6A4135
	buffer_load_dwordx4 a[36:39], v40, s[12:15], 0 offen       // 000000004C68: E05C1000 80832428
	v_add_f32_e64 v50, v50, 1.0                                // 000000004C70: D1010032 0001E532
	v_add_f32_e64 v51, v51, 1.0                                // 000000004C78: D1010033 0001E533
	v_add_f32_e64 v52, v52, 1.0                                // 000000004C80: D1010034 0001E534
	v_add_f32_e64 v53, v53, 1.0                                // 000000004C88: D1010035 0001E535
	v_rcp_f32_e32 v50, v50                                     // 000000004C90: 7E644532
	v_rcp_f32_e32 v51, v51                                     // 000000004C94: 7E664533
	v_rcp_f32_e32 v52, v52                                     // 000000004C98: 7E684534
	v_rcp_f32_e32 v53, v53                                     // 000000004C9C: 7E6A4535
	v_mul_f32_e32 v144, v144, v50                              // 000000004CA0: 0B206590
	v_mul_f32_e32 v145, v145, v51                              // 000000004CA4: 0B226791
	v_mul_f32_e32 v146, v146, v52                              // 000000004CA8: 0B246992
	v_mul_f32_e32 v147, v147, v53                              // 000000004CAC: 0B266B93
	v_mul_f32_e32 v144, v144, v80                              // 000000004CB0: 0B20A190
	v_mul_f32_e32 v145, v145, v81                              // 000000004CB4: 0B22A391
	v_mul_f32_e32 v146, v146, v82                              // 000000004CB8: 0B24A592
	v_mul_f32_e32 v147, v147, v83                              // 000000004CBC: 0B26A793
	buffer_load_dwordx4 a[40:43], v41, s[12:15], 0 offen       // 000000004CC0: E05C1000 80832829
	v_mul_f32_e32 v50, v148, v148                              // 000000004CC8: 0A652994
	v_mul_f32_e32 v51, v149, v149                              // 000000004CCC: 0A672B95
	v_mul_f32_e32 v52, v150, v150                              // 000000004CD0: 0A692D96
	v_mul_f32_e32 v53, v151, v151                              // 000000004CD4: 0A6B2F97
	v_fma_f32 v50, v50, s77, v1                                // 000000004CD8: D1CB0032 04049B32
	v_fma_f32 v51, v51, s77, v1                                // 000000004CE0: D1CB0033 04049B33
	v_fma_f32 v52, v52, s77, v1                                // 000000004CE8: D1CB0034 04049B34
	v_fma_f32 v53, v53, s77, v1                                // 000000004CF0: D1CB0035 04049B35
	v_mul_f32_e32 v50, v50, v148                               // 000000004CF8: 0A652932
	v_mul_f32_e32 v51, v51, v149                               // 000000004CFC: 0A672B33
	v_mul_f32_e32 v52, v52, v150                               // 000000004D00: 0A692D34
	v_mul_f32_e32 v53, v53, v151                               // 000000004D04: 0A6B2F35
	v_mul_f32_e64 v50, v50, s6                                 // 000000004D08: D1050032 00000D32
	v_mul_f32_e64 v51, v51, s6                                 // 000000004D10: D1050033 00000D33
	v_mul_f32_e64 v52, v52, s6                                 // 000000004D18: D1050034 00000D34
	v_mul_f32_e64 v53, v53, s6                                 // 000000004D20: D1050035 00000D35
	v_exp_f32_e32 v50, v50                                     // 000000004D28: 7E644132
	v_exp_f32_e32 v51, v51                                     // 000000004D2C: 7E664133
	v_exp_f32_e32 v52, v52                                     // 000000004D30: 7E684134
	v_exp_f32_e32 v53, v53                                     // 000000004D34: 7E6A4135
	buffer_load_dwordx4 a[44:47], v42, s[12:15], 0 offen       // 000000004D38: E05C1000 80832C2A
	s_add_u32 s12, s78, s12                                    // 000000004D40: 800C0C4E
	s_addc_u32 s13, 0, s13                                     // 000000004D44: 820D0D80
	v_add_f32_e64 v50, v50, 1.0                                // 000000004D48: D1010032 0001E532
	v_add_f32_e64 v51, v51, 1.0                                // 000000004D50: D1010033 0001E533
	v_add_f32_e64 v52, v52, 1.0                                // 000000004D58: D1010034 0001E534
	v_add_f32_e64 v53, v53, 1.0                                // 000000004D60: D1010035 0001E535
	v_rcp_f32_e32 v50, v50                                     // 000000004D68: 7E644532
	v_rcp_f32_e32 v51, v51                                     // 000000004D6C: 7E664533
	v_rcp_f32_e32 v52, v52                                     // 000000004D70: 7E684534
	v_rcp_f32_e32 v53, v53                                     // 000000004D74: 7E6A4535
	v_mul_f32_e32 v148, v148, v50                              // 000000004D78: 0B286594
	v_mul_f32_e32 v149, v149, v51                              // 000000004D7C: 0B2A6795
	v_mul_f32_e32 v150, v150, v52                              // 000000004D80: 0B2C6996
	v_mul_f32_e32 v151, v151, v53                              // 000000004D84: 0B2E6B97
	v_mul_f32_e32 v148, v148, v84                              // 000000004D88: 0B28A994
	v_mul_f32_e32 v149, v149, v85                              // 000000004D8C: 0B2AAB95
	v_mul_f32_e32 v150, v150, v86                              // 000000004D90: 0B2CAD96
	v_mul_f32_e32 v151, v151, v87                              // 000000004D94: 0B2EAF97
	s_waitcnt vmcnt(16)                                        // 000000004D98: BF8C4F70
	buffer_load_dwordx4 a[48:51], v39, s[12:15], 0 offen       // 000000004D9C: E05C1000 80833027
	v_mul_f32_e32 v50, v152, v152                              // 000000004DA4: 0A653198
	v_mul_f32_e32 v51, v153, v153                              // 000000004DA8: 0A673399
	v_mul_f32_e32 v52, v154, v154                              // 000000004DAC: 0A69359A
	v_mul_f32_e32 v53, v155, v155                              // 000000004DB0: 0A6B379B
	v_fma_f32 v50, v50, s77, v1                                // 000000004DB4: D1CB0032 04049B32
	v_fma_f32 v51, v51, s77, v1                                // 000000004DBC: D1CB0033 04049B33
	v_fma_f32 v52, v52, s77, v1                                // 000000004DC4: D1CB0034 04049B34
	v_fma_f32 v53, v53, s77, v1                                // 000000004DCC: D1CB0035 04049B35
	v_mul_f32_e32 v50, v50, v152                               // 000000004DD4: 0A653132
	v_mul_f32_e32 v51, v51, v153                               // 000000004DD8: 0A673333
	v_mul_f32_e32 v52, v52, v154                               // 000000004DDC: 0A693534
	v_mul_f32_e32 v53, v53, v155                               // 000000004DE0: 0A6B3735
	v_mul_f32_e64 v50, v50, s6                                 // 000000004DE4: D1050032 00000D32
	v_mul_f32_e64 v51, v51, s6                                 // 000000004DEC: D1050033 00000D33
	v_mul_f32_e64 v52, v52, s6                                 // 000000004DF4: D1050034 00000D34
	v_mul_f32_e64 v53, v53, s6                                 // 000000004DFC: D1050035 00000D35
	v_exp_f32_e32 v50, v50                                     // 000000004E04: 7E644132
	v_exp_f32_e32 v51, v51                                     // 000000004E08: 7E664133
	v_exp_f32_e32 v52, v52                                     // 000000004E0C: 7E684134
	v_exp_f32_e32 v53, v53                                     // 000000004E10: 7E6A4135
	buffer_load_dwordx4 a[52:55], v40, s[12:15], 0 offen       // 000000004E14: E05C1000 80833428
	v_add_f32_e64 v50, v50, 1.0                                // 000000004E1C: D1010032 0001E532
	v_add_f32_e64 v51, v51, 1.0                                // 000000004E24: D1010033 0001E533
	v_add_f32_e64 v52, v52, 1.0                                // 000000004E2C: D1010034 0001E534
	v_add_f32_e64 v53, v53, 1.0                                // 000000004E34: D1010035 0001E535
	v_rcp_f32_e32 v50, v50                                     // 000000004E3C: 7E644532
	v_rcp_f32_e32 v51, v51                                     // 000000004E40: 7E664533
	v_rcp_f32_e32 v52, v52                                     // 000000004E44: 7E684534
	v_rcp_f32_e32 v53, v53                                     // 000000004E48: 7E6A4535
	v_mul_f32_e32 v152, v152, v50                              // 000000004E4C: 0B306598
	v_mul_f32_e32 v153, v153, v51                              // 000000004E50: 0B326799
	v_mul_f32_e32 v154, v154, v52                              // 000000004E54: 0B34699A
	v_mul_f32_e32 v155, v155, v53                              // 000000004E58: 0B366B9B
	v_mul_f32_e32 v152, v152, v88                              // 000000004E5C: 0B30B198
	v_mul_f32_e32 v153, v153, v89                              // 000000004E60: 0B32B399
	v_mul_f32_e32 v154, v154, v90                              // 000000004E64: 0B34B59A
	v_mul_f32_e32 v155, v155, v91                              // 000000004E68: 0B36B79B
	buffer_load_dwordx4 a[56:59], v41, s[12:15], 0 offen       // 000000004E6C: E05C1000 80833829
	v_mul_f32_e32 v50, v156, v156                              // 000000004E74: 0A65399C
	v_mul_f32_e32 v51, v157, v157                              // 000000004E78: 0A673B9D
	v_mul_f32_e32 v52, v158, v158                              // 000000004E7C: 0A693D9E
	v_mul_f32_e32 v53, v159, v159                              // 000000004E80: 0A6B3F9F
	v_fma_f32 v50, v50, s77, v1                                // 000000004E84: D1CB0032 04049B32
	v_fma_f32 v51, v51, s77, v1                                // 000000004E8C: D1CB0033 04049B33
	v_fma_f32 v52, v52, s77, v1                                // 000000004E94: D1CB0034 04049B34
	v_fma_f32 v53, v53, s77, v1                                // 000000004E9C: D1CB0035 04049B35
	v_mul_f32_e32 v50, v50, v156                               // 000000004EA4: 0A653932
	v_mul_f32_e32 v51, v51, v157                               // 000000004EA8: 0A673B33
	v_mul_f32_e32 v52, v52, v158                               // 000000004EAC: 0A693D34
	v_mul_f32_e32 v53, v53, v159                               // 000000004EB0: 0A6B3F35
	v_mul_f32_e64 v50, v50, s6                                 // 000000004EB4: D1050032 00000D32
	v_mul_f32_e64 v51, v51, s6                                 // 000000004EBC: D1050033 00000D33
	v_mul_f32_e64 v52, v52, s6                                 // 000000004EC4: D1050034 00000D34
	v_mul_f32_e64 v53, v53, s6                                 // 000000004ECC: D1050035 00000D35
	v_exp_f32_e32 v50, v50                                     // 000000004ED4: 7E644132
	v_exp_f32_e32 v51, v51                                     // 000000004ED8: 7E664133
	v_exp_f32_e32 v52, v52                                     // 000000004EDC: 7E684134
	v_exp_f32_e32 v53, v53                                     // 000000004EE0: 7E6A4135
	buffer_load_dwordx4 a[60:63], v42, s[12:15], 0 offen       // 000000004EE4: E05C1000 80833C2A
	s_add_u32 s12, s78, s12                                    // 000000004EEC: 800C0C4E
	s_addc_u32 s13, 0, s13                                     // 000000004EF0: 820D0D80
	v_add_f32_e64 v50, v50, 1.0                                // 000000004EF4: D1010032 0001E532
	v_add_f32_e64 v51, v51, 1.0                                // 000000004EFC: D1010033 0001E533
	v_add_f32_e64 v52, v52, 1.0                                // 000000004F04: D1010034 0001E534
	v_add_f32_e64 v53, v53, 1.0                                // 000000004F0C: D1010035 0001E535
	v_rcp_f32_e32 v50, v50                                     // 000000004F14: 7E644532
	v_rcp_f32_e32 v51, v51                                     // 000000004F18: 7E664533
	v_rcp_f32_e32 v52, v52                                     // 000000004F1C: 7E684534
	v_rcp_f32_e32 v53, v53                                     // 000000004F20: 7E6A4535
	v_mul_f32_e32 v156, v156, v50                              // 000000004F24: 0B38659C
	v_mul_f32_e32 v157, v157, v51                              // 000000004F28: 0B3A679D
	v_mul_f32_e32 v158, v158, v52                              // 000000004F2C: 0B3C699E
	v_mul_f32_e32 v159, v159, v53                              // 000000004F30: 0B3E6B9F
	v_mul_f32_e32 v156, v156, v92                              // 000000004F34: 0B38B99C
	v_mul_f32_e32 v157, v157, v93                              // 000000004F38: 0B3ABB9D
	v_mul_f32_e32 v158, v158, v94                              // 000000004F3C: 0B3CBD9E
	v_mul_f32_e32 v159, v159, v95                              // 000000004F40: 0B3EBF9F
	s_waitcnt vmcnt(16)                                        // 000000004F44: BF8C4F70
	buffer_load_dwordx4 a[64:67], v39, s[12:15], 0 offen       // 000000004F48: E05C1000 80834027
	v_mul_f32_e32 v50, v160, v160                              // 000000004F50: 0A6541A0
	v_mul_f32_e32 v51, v161, v161                              // 000000004F54: 0A6743A1
	v_mul_f32_e32 v52, v162, v162                              // 000000004F58: 0A6945A2
	v_mul_f32_e32 v53, v163, v163                              // 000000004F5C: 0A6B47A3
	v_fma_f32 v50, v50, s77, v1                                // 000000004F60: D1CB0032 04049B32
	v_fma_f32 v51, v51, s77, v1                                // 000000004F68: D1CB0033 04049B33
	v_fma_f32 v52, v52, s77, v1                                // 000000004F70: D1CB0034 04049B34
	v_fma_f32 v53, v53, s77, v1                                // 000000004F78: D1CB0035 04049B35
	v_mul_f32_e32 v50, v50, v160                               // 000000004F80: 0A654132
	v_mul_f32_e32 v51, v51, v161                               // 000000004F84: 0A674333
	v_mul_f32_e32 v52, v52, v162                               // 000000004F88: 0A694534
	v_mul_f32_e32 v53, v53, v163                               // 000000004F8C: 0A6B4735
	v_mul_f32_e64 v50, v50, s6                                 // 000000004F90: D1050032 00000D32
	v_mul_f32_e64 v51, v51, s6                                 // 000000004F98: D1050033 00000D33
	v_mul_f32_e64 v52, v52, s6                                 // 000000004FA0: D1050034 00000D34
	v_mul_f32_e64 v53, v53, s6                                 // 000000004FA8: D1050035 00000D35
	v_exp_f32_e32 v50, v50                                     // 000000004FB0: 7E644132
	v_exp_f32_e32 v51, v51                                     // 000000004FB4: 7E664133
	v_exp_f32_e32 v52, v52                                     // 000000004FB8: 7E684134
	v_exp_f32_e32 v53, v53                                     // 000000004FBC: 7E6A4135
	buffer_load_dwordx4 a[68:71], v40, s[12:15], 0 offen       // 000000004FC0: E05C1000 80834428
	v_add_f32_e64 v50, v50, 1.0                                // 000000004FC8: D1010032 0001E532
	v_add_f32_e64 v51, v51, 1.0                                // 000000004FD0: D1010033 0001E533
	v_add_f32_e64 v52, v52, 1.0                                // 000000004FD8: D1010034 0001E534
	v_add_f32_e64 v53, v53, 1.0                                // 000000004FE0: D1010035 0001E535
	v_rcp_f32_e32 v50, v50                                     // 000000004FE8: 7E644532
	v_rcp_f32_e32 v51, v51                                     // 000000004FEC: 7E664533
	v_rcp_f32_e32 v52, v52                                     // 000000004FF0: 7E684534
	v_rcp_f32_e32 v53, v53                                     // 000000004FF4: 7E6A4535
	v_mul_f32_e32 v160, v160, v50                              // 000000004FF8: 0B4065A0
	v_mul_f32_e32 v161, v161, v51                              // 000000004FFC: 0B4267A1
	v_mul_f32_e32 v162, v162, v52                              // 000000005000: 0B4469A2
	v_mul_f32_e32 v163, v163, v53                              // 000000005004: 0B466BA3
	v_mul_f32_e32 v160, v160, v96                              // 000000005008: 0B40C1A0
	v_mul_f32_e32 v161, v161, v97                              // 00000000500C: 0B42C3A1
	v_mul_f32_e32 v162, v162, v98                              // 000000005010: 0B44C5A2
	v_mul_f32_e32 v163, v163, v99                              // 000000005014: 0B46C7A3
	buffer_load_dwordx4 a[72:75], v41, s[12:15], 0 offen       // 000000005018: E05C1000 80834829
	v_mul_f32_e32 v50, v164, v164                              // 000000005020: 0A6549A4
	v_mul_f32_e32 v51, v165, v165                              // 000000005024: 0A674BA5
	v_mul_f32_e32 v52, v166, v166                              // 000000005028: 0A694DA6
	v_mul_f32_e32 v53, v167, v167                              // 00000000502C: 0A6B4FA7
	v_fma_f32 v50, v50, s77, v1                                // 000000005030: D1CB0032 04049B32
	v_fma_f32 v51, v51, s77, v1                                // 000000005038: D1CB0033 04049B33
	v_fma_f32 v52, v52, s77, v1                                // 000000005040: D1CB0034 04049B34
	v_fma_f32 v53, v53, s77, v1                                // 000000005048: D1CB0035 04049B35
	v_mul_f32_e32 v50, v50, v164                               // 000000005050: 0A654932
	v_mul_f32_e32 v51, v51, v165                               // 000000005054: 0A674B33
	v_mul_f32_e32 v52, v52, v166                               // 000000005058: 0A694D34
	v_mul_f32_e32 v53, v53, v167                               // 00000000505C: 0A6B4F35
	v_mul_f32_e64 v50, v50, s6                                 // 000000005060: D1050032 00000D32
	v_mul_f32_e64 v51, v51, s6                                 // 000000005068: D1050033 00000D33
	v_mul_f32_e64 v52, v52, s6                                 // 000000005070: D1050034 00000D34
	v_mul_f32_e64 v53, v53, s6                                 // 000000005078: D1050035 00000D35
	v_exp_f32_e32 v50, v50                                     // 000000005080: 7E644132
	v_exp_f32_e32 v51, v51                                     // 000000005084: 7E664133
	v_exp_f32_e32 v52, v52                                     // 000000005088: 7E684134
	v_exp_f32_e32 v53, v53                                     // 00000000508C: 7E6A4135
	buffer_load_dwordx4 a[76:79], v42, s[12:15], 0 offen       // 000000005090: E05C1000 80834C2A
	v_add_f32_e64 v50, v50, 1.0                                // 000000005098: D1010032 0001E532
	v_add_f32_e64 v51, v51, 1.0                                // 0000000050A0: D1010033 0001E533
	v_add_f32_e64 v52, v52, 1.0                                // 0000000050A8: D1010034 0001E534
	v_add_f32_e64 v53, v53, 1.0                                // 0000000050B0: D1010035 0001E535
	v_rcp_f32_e32 v50, v50                                     // 0000000050B8: 7E644532
	v_rcp_f32_e32 v51, v51                                     // 0000000050BC: 7E664533
	v_rcp_f32_e32 v52, v52                                     // 0000000050C0: 7E684534
	v_rcp_f32_e32 v53, v53                                     // 0000000050C4: 7E6A4535
	v_mul_f32_e32 v164, v164, v50                              // 0000000050C8: 0B4865A4
	v_mul_f32_e32 v165, v165, v51                              // 0000000050CC: 0B4A67A5
	v_mul_f32_e32 v166, v166, v52                              // 0000000050D0: 0B4C69A6
	v_mul_f32_e32 v167, v167, v53                              // 0000000050D4: 0B4E6BA7
	v_mul_f32_e32 v164, v164, v100                             // 0000000050D8: 0B48C9A4
	v_mul_f32_e32 v165, v165, v101                             // 0000000050DC: 0B4ACBA5
	v_mul_f32_e32 v166, v166, v102                             // 0000000050E0: 0B4CCDA6
	v_mul_f32_e32 v167, v167, v103                             // 0000000050E4: 0B4ECFA7
	v_lshlrev_b32_e32 v50, 2, v0                               // 0000000050E8: 24640082
	s_mul_i32 s60, s82, s71                                    // 0000000050EC: 923C4752
	v_add_u32_e64 v80, v50, s60                                // 0000000050F0: D1340050 00007932
	v_mov_b32_e32 v81, 0                                       // 0000000050F8: 7EA20280
	s_mul_i32 s60, s83, s71                                    // 0000000050FC: 923C4753
	v_add_u32_e64 v82, v50, s60                                // 000000005100: D1340052 00007932
	v_mov_b32_e32 v83, 0                                       // 000000005108: 7EA60280
	s_mul_i32 s60, s84, s71                                    // 00000000510C: 923C4754
	v_add_u32_e64 v84, v50, s60                                // 000000005110: D1340054 00007932
	v_mov_b32_e32 v85, 0                                       // 000000005118: 7EAA0280
	s_mul_i32 s60, s85, s71                                    // 00000000511C: 923C4755
	v_add_u32_e64 v86, v50, s60                                // 000000005120: D1340056 00007932
	v_mov_b32_e32 v87, 0                                       // 000000005128: 7EAE0280
	s_mul_i32 s60, s86, s71                                    // 00000000512C: 923C4756
	v_add_u32_e64 v88, v50, s60                                // 000000005130: D1340058 00007932
	v_mov_b32_e32 v89, 0                                       // 000000005138: 7EB20280
	s_mul_i32 s60, s87, s71                                    // 00000000513C: 923C4757
	v_add_u32_e64 v90, v50, s60                                // 000000005140: D134005A 00007932
	v_mov_b32_e32 v91, 0                                       // 000000005148: 7EB60280
	s_mul_i32 s60, s88, s71                                    // 00000000514C: 923C4758
	v_add_u32_e64 v92, v50, s60                                // 000000005150: D134005C 00007932
	v_mov_b32_e32 v93, 0                                       // 000000005158: 7EBA0280
	s_mul_i32 s60, s89, s71                                    // 00000000515C: 923C4759
	v_add_u32_e64 v94, v50, s60                                // 000000005160: D134005E 00007932
	v_mov_b32_e32 v95, 0                                       // 000000005168: 7EBE0280
	buffer_load_dword v12, v5, s[16:19], 0 offen               // 00000000516C: E0501000 80040C05
	v_mov_b32_e32 v22, 0x358637bd                              // 000000005174: 7E2C02FF 358637BD
	v_mov_b32_e32 v23, 0x358637bd                              // 00000000517C: 7E2E02FF 358637BD
	v_max3_f32 v22, |v128|, |v129|, v22                        // 000000005184: D1D30316 045B0380
	v_max3_f32 v22, |v130|, |v131|, v22                        // 00000000518C: D1D30316 045B0782
	v_max3_f32 v23, |v132|, |v133|, v23                        // 000000005194: D1D30317 045F0B84
	v_max3_f32 v23, |v134|, |v135|, v23                        // 00000000519C: D1D30317 045F0F86
	v_max3_f32 v22, |v136|, |v137|, v22                        // 0000000051A4: D1D30316 045B1388
	v_max3_f32 v22, |v138|, |v139|, v22                        // 0000000051AC: D1D30316 045B178A
	v_max3_f32 v23, |v140|, |v141|, v23                        // 0000000051B4: D1D30317 045F1B8C
	v_max3_f32 v23, |v142|, |v143|, v23                        // 0000000051BC: D1D30317 045F1F8E
	v_max3_f32 v22, |v144|, |v145|, v22                        // 0000000051C4: D1D30316 045B2390
	v_max3_f32 v22, |v146|, |v147|, v22                        // 0000000051CC: D1D30316 045B2792
	v_max3_f32 v23, |v148|, |v149|, v23                        // 0000000051D4: D1D30317 045F2B94
	v_max3_f32 v23, |v150|, |v151|, v23                        // 0000000051DC: D1D30317 045F2F96
	v_max3_f32 v22, |v152|, |v153|, v22                        // 0000000051E4: D1D30316 045B3398
	v_max3_f32 v22, |v154|, |v155|, v22                        // 0000000051EC: D1D30316 045B379A
	v_max3_f32 v23, |v156|, |v157|, v23                        // 0000000051F4: D1D30317 045F3B9C
	v_max3_f32 v23, |v158|, |v159|, v23                        // 0000000051FC: D1D30317 045F3F9E
	v_max3_f32 v22, |v160|, |v161|, v22                        // 000000005204: D1D30316 045B43A0
	v_max3_f32 v22, |v162|, |v163|, v22                        // 00000000520C: D1D30316 045B47A2
	v_max3_f32 v23, |v164|, |v165|, v23                        // 000000005214: D1D30317 045F4BA4
	v_max3_f32 v23, |v166|, |v167|, v23                        // 00000000521C: D1D30317 045F4FA6
	v_lshlrev_b32_e32 v50, 3, v0                               // 000000005224: 24640083
	s_mul_i32 s60, 0x200, s7                                   // 000000005228: 923C07FF 00000200
	v_add_u32_e32 v50, s60, v50                                // 000000005230: 6864643C
	ds_write_b64 v50, v[22:23] offset:16640                    // 000000005234: D89A4100 00001632
	s_waitcnt lgkmcnt(0)                                       // 00000000523C: BF8CC07F
	s_barrier                                                  // 000000005240: BF8A0000
	v_and_b32_e32 v50, 15, v0                                  // 000000005244: 2664008F
	v_lshlrev_b32_e32 v50, 3, v50                              // 000000005248: 24646483
	ds_read_b64 v[96:97], v50 offset:16640                     // 00000000524C: D8EC4100 60000032
	ds_read_b64 v[98:99], v50 offset:16768                     // 000000005254: D8EC4180 62000032
	ds_read_b64 v[100:101], v50 offset:16896                   // 00000000525C: D8EC4200 64000032
	ds_read_b64 v[102:103], v50 offset:17024                   // 000000005264: D8EC4280 66000032
	ds_read_b64 v[104:105], v50 offset:17152                   // 00000000526C: D8EC4300 68000032
	ds_read_b64 v[106:107], v50 offset:17280                   // 000000005274: D8EC4380 6A000032
	ds_read_b64 v[108:109], v50 offset:17408                   // 00000000527C: D8EC4400 6C000032
	ds_read_b64 v[110:111], v50 offset:17536                   // 000000005284: D8EC4480 6E000032
	ds_read_b64 v[112:113], v50 offset:17664                   // 00000000528C: D8EC4500 70000032
	ds_read_b64 v[114:115], v50 offset:17792                   // 000000005294: D8EC4580 72000032
	ds_read_b64 v[116:117], v50 offset:17920                   // 00000000529C: D8EC4600 74000032
	ds_read_b64 v[118:119], v50 offset:18048                   // 0000000052A4: D8EC4680 76000032
	ds_read_b64 v[120:121], v50 offset:18176                   // 0000000052AC: D8EC4700 78000032
	ds_read_b64 v[122:123], v50 offset:18304                   // 0000000052B4: D8EC4780 7A000032
	ds_read_b64 v[124:125], v50 offset:18432                   // 0000000052BC: D8EC4800 7C000032
	ds_read_b64 v[126:127], v50 offset:18560                   // 0000000052C4: D8EC4880 7E000032
	s_waitcnt lgkmcnt(0)                                       // 0000000052CC: BF8CC07F
	v_max3_f32 v22, |v96|, |v98|, v22                          // 0000000052D0: D1D30316 045AC560
	v_max3_f32 v23, |v97|, |v99|, v23                          // 0000000052D8: D1D30317 045EC761
	v_max3_f32 v22, |v100|, |v102|, v22                        // 0000000052E0: D1D30316 045ACD64
	v_max3_f32 v23, |v101|, |v103|, v23                        // 0000000052E8: D1D30317 045ECF65
	v_max3_f32 v22, |v104|, |v106|, v22                        // 0000000052F0: D1D30316 045AD568
	v_max3_f32 v23, |v105|, |v107|, v23                        // 0000000052F8: D1D30317 045ED769
	v_max3_f32 v22, |v108|, |v110|, v22                        // 000000005300: D1D30316 045ADD6C
	v_max3_f32 v23, |v109|, |v111|, v23                        // 000000005308: D1D30317 045EDF6D
	v_max3_f32 v22, |v112|, |v114|, v22                        // 000000005310: D1D30316 045AE570
	v_max3_f32 v23, |v113|, |v115|, v23                        // 000000005318: D1D30317 045EE771
	v_max3_f32 v22, |v116|, |v118|, v22                        // 000000005320: D1D30316 045AED74
	v_max3_f32 v23, |v117|, |v119|, v23                        // 000000005328: D1D30317 045EEF75
	v_max3_f32 v22, |v120|, |v122|, v22                        // 000000005330: D1D30316 045AF578
	v_max3_f32 v23, |v121|, |v123|, v23                        // 000000005338: D1D30317 045EF779
	v_max3_f32 v22, |v124|, |v126|, v22                        // 000000005340: D1D30316 045AFD7C
	v_max3_f32 v23, |v125|, |v127|, v23                        // 000000005348: D1D30317 045EFF7D
	v_rcp_f32_e32 v22, v22                                     // 000000005350: 7E2C4516
	v_rcp_f32_e32 v23, v23                                     // 000000005354: 7E2E4517
	v_mul_f32_e32 v22, 0x42fe0000, v22                         // 000000005358: 0A2C2CFF 42FE0000
	v_mul_f32_e32 v23, 0x42fe0000, v23                         // 000000005360: 0A2E2EFF 42FE0000
	v_mul_f32_e32 v128, v22, v128                              // 000000005368: 0B010116
	v_mul_f32_e32 v129, v22, v129                              // 00000000536C: 0B030316
	v_mul_f32_e32 v130, v22, v130                              // 000000005370: 0B050516
	v_mul_f32_e32 v131, v22, v131                              // 000000005374: 0B070716
	v_cvt_i32_f32_e32 v128, v128                               // 000000005378: 7F001180
	v_cvt_i32_f32_e32 v129, v129                               // 00000000537C: 7F021181
	v_cvt_i32_f32_e32 v130, v130                               // 000000005380: 7F041182
	v_cvt_i32_f32_e32 v131, v131                               // 000000005384: 7F061183
	v_perm_b32 v128, v129, v128, s53                           // 000000005388: D1ED0080 00D70181
	v_perm_b32 v128, v130, v128, s54                           // 000000005390: D1ED0080 00DB0182
	v_perm_b32 v128, v131, v128, s55                           // 000000005398: D1ED0080 00DF0183
	v_mul_f32_e32 v132, v23, v132                              // 0000000053A0: 0B090917
	v_mul_f32_e32 v133, v23, v133                              // 0000000053A4: 0B0B0B17
	v_mul_f32_e32 v134, v23, v134                              // 0000000053A8: 0B0D0D17
	v_mul_f32_e32 v135, v23, v135                              // 0000000053AC: 0B0F0F17
	v_cvt_i32_f32_e32 v132, v132                               // 0000000053B0: 7F081184
	v_cvt_i32_f32_e32 v133, v133                               // 0000000053B4: 7F0A1185
	v_cvt_i32_f32_e32 v134, v134                               // 0000000053B8: 7F0C1186
	v_cvt_i32_f32_e32 v135, v135                               // 0000000053BC: 7F0E1187
	v_perm_b32 v129, v133, v132, s53                           // 0000000053C0: D1ED0081 00D70985
	v_perm_b32 v129, v134, v129, s54                           // 0000000053C8: D1ED0081 00DB0386
	v_perm_b32 v129, v135, v129, s55                           // 0000000053D0: D1ED0081 00DF0387
	v_mul_f32_e32 v136, v22, v136                              // 0000000053D8: 0B111116
	v_mul_f32_e32 v137, v22, v137                              // 0000000053DC: 0B131316
	v_mul_f32_e32 v138, v22, v138                              // 0000000053E0: 0B151516
	v_mul_f32_e32 v139, v22, v139                              // 0000000053E4: 0B171716
	v_cvt_i32_f32_e32 v136, v136                               // 0000000053E8: 7F101188
	v_cvt_i32_f32_e32 v137, v137                               // 0000000053EC: 7F121189
	v_cvt_i32_f32_e32 v138, v138                               // 0000000053F0: 7F14118A
	v_cvt_i32_f32_e32 v139, v139                               // 0000000053F4: 7F16118B
	v_perm_b32 v130, v137, v136, s53                           // 0000000053F8: D1ED0082 00D71189
	v_perm_b32 v130, v138, v130, s54                           // 000000005400: D1ED0082 00DB058A
	v_perm_b32 v130, v139, v130, s55                           // 000000005408: D1ED0082 00DF058B
	v_mul_f32_e32 v140, v23, v140                              // 000000005410: 0B191917
	v_mul_f32_e32 v141, v23, v141                              // 000000005414: 0B1B1B17
	v_mul_f32_e32 v142, v23, v142                              // 000000005418: 0B1D1D17
	v_mul_f32_e32 v143, v23, v143                              // 00000000541C: 0B1F1F17
	v_cvt_i32_f32_e32 v140, v140                               // 000000005420: 7F18118C
	v_cvt_i32_f32_e32 v141, v141                               // 000000005424: 7F1A118D
	v_cvt_i32_f32_e32 v142, v142                               // 000000005428: 7F1C118E
	v_cvt_i32_f32_e32 v143, v143                               // 00000000542C: 7F1E118F
	v_perm_b32 v131, v141, v140, s53                           // 000000005430: D1ED0083 00D7198D
	v_perm_b32 v131, v142, v131, s54                           // 000000005438: D1ED0083 00DB078E
	v_perm_b32 v131, v143, v131, s55                           // 000000005440: D1ED0083 00DF078F
	v_mul_f32_e32 v144, v22, v144                              // 000000005448: 0B212116
	v_mul_f32_e32 v145, v22, v145                              // 00000000544C: 0B232316
	v_mul_f32_e32 v146, v22, v146                              // 000000005450: 0B252516
	v_mul_f32_e32 v147, v22, v147                              // 000000005454: 0B272716
	v_cvt_i32_f32_e32 v144, v144                               // 000000005458: 7F201190
	v_cvt_i32_f32_e32 v145, v145                               // 00000000545C: 7F221191
	v_cvt_i32_f32_e32 v146, v146                               // 000000005460: 7F241192
	v_cvt_i32_f32_e32 v147, v147                               // 000000005464: 7F261193
	v_perm_b32 v132, v145, v144, s53                           // 000000005468: D1ED0084 00D72191
	v_perm_b32 v132, v146, v132, s54                           // 000000005470: D1ED0084 00DB0992
	v_perm_b32 v132, v147, v132, s55                           // 000000005478: D1ED0084 00DF0993
	v_mul_f32_e32 v148, v23, v148                              // 000000005480: 0B292917
	v_mul_f32_e32 v149, v23, v149                              // 000000005484: 0B2B2B17
	v_mul_f32_e32 v150, v23, v150                              // 000000005488: 0B2D2D17
	v_mul_f32_e32 v151, v23, v151                              // 00000000548C: 0B2F2F17
	v_cvt_i32_f32_e32 v148, v148                               // 000000005490: 7F281194
	v_cvt_i32_f32_e32 v149, v149                               // 000000005494: 7F2A1195
	v_cvt_i32_f32_e32 v150, v150                               // 000000005498: 7F2C1196
	v_cvt_i32_f32_e32 v151, v151                               // 00000000549C: 7F2E1197
	v_perm_b32 v133, v149, v148, s53                           // 0000000054A0: D1ED0085 00D72995
	v_perm_b32 v133, v150, v133, s54                           // 0000000054A8: D1ED0085 00DB0B96
	v_perm_b32 v133, v151, v133, s55                           // 0000000054B0: D1ED0085 00DF0B97
	v_mul_f32_e32 v152, v22, v152                              // 0000000054B8: 0B313116
	v_mul_f32_e32 v153, v22, v153                              // 0000000054BC: 0B333316
	v_mul_f32_e32 v154, v22, v154                              // 0000000054C0: 0B353516
	v_mul_f32_e32 v155, v22, v155                              // 0000000054C4: 0B373716
	v_cvt_i32_f32_e32 v152, v152                               // 0000000054C8: 7F301198
	v_cvt_i32_f32_e32 v153, v153                               // 0000000054CC: 7F321199
	v_cvt_i32_f32_e32 v154, v154                               // 0000000054D0: 7F34119A
	v_cvt_i32_f32_e32 v155, v155                               // 0000000054D4: 7F36119B
	v_perm_b32 v134, v153, v152, s53                           // 0000000054D8: D1ED0086 00D73199
	v_perm_b32 v134, v154, v134, s54                           // 0000000054E0: D1ED0086 00DB0D9A
	v_perm_b32 v134, v155, v134, s55                           // 0000000054E8: D1ED0086 00DF0D9B
	v_mul_f32_e32 v156, v23, v156                              // 0000000054F0: 0B393917
	v_mul_f32_e32 v157, v23, v157                              // 0000000054F4: 0B3B3B17
	v_mul_f32_e32 v158, v23, v158                              // 0000000054F8: 0B3D3D17
	v_mul_f32_e32 v159, v23, v159                              // 0000000054FC: 0B3F3F17
	v_cvt_i32_f32_e32 v156, v156                               // 000000005500: 7F38119C
	v_cvt_i32_f32_e32 v157, v157                               // 000000005504: 7F3A119D
	v_cvt_i32_f32_e32 v158, v158                               // 000000005508: 7F3C119E
	v_cvt_i32_f32_e32 v159, v159                               // 00000000550C: 7F3E119F
	v_perm_b32 v135, v157, v156, s53                           // 000000005510: D1ED0087 00D7399D
	v_perm_b32 v135, v158, v135, s54                           // 000000005518: D1ED0087 00DB0F9E
	v_perm_b32 v135, v159, v135, s55                           // 000000005520: D1ED0087 00DF0F9F
	v_mul_f32_e32 v160, v22, v160                              // 000000005528: 0B414116
	v_mul_f32_e32 v161, v22, v161                              // 00000000552C: 0B434316
	v_mul_f32_e32 v162, v22, v162                              // 000000005530: 0B454516
	v_mul_f32_e32 v163, v22, v163                              // 000000005534: 0B474716
	v_cvt_i32_f32_e32 v160, v160                               // 000000005538: 7F4011A0
	v_cvt_i32_f32_e32 v161, v161                               // 00000000553C: 7F4211A1
	v_cvt_i32_f32_e32 v162, v162                               // 000000005540: 7F4411A2
	v_cvt_i32_f32_e32 v163, v163                               // 000000005544: 7F4611A3
	v_perm_b32 v136, v161, v160, s53                           // 000000005548: D1ED0088 00D741A1
	v_perm_b32 v136, v162, v136, s54                           // 000000005550: D1ED0088 00DB11A2
	v_perm_b32 v136, v163, v136, s55                           // 000000005558: D1ED0088 00DF11A3
	v_mul_f32_e32 v164, v23, v164                              // 000000005560: 0B494917
	v_mul_f32_e32 v165, v23, v165                              // 000000005564: 0B4B4B17
	v_mul_f32_e32 v166, v23, v166                              // 000000005568: 0B4D4D17
	v_mul_f32_e32 v167, v23, v167                              // 00000000556C: 0B4F4F17
	v_cvt_i32_f32_e32 v164, v164                               // 000000005570: 7F4811A4
	v_cvt_i32_f32_e32 v165, v165                               // 000000005574: 7F4A11A5
	v_cvt_i32_f32_e32 v166, v166                               // 000000005578: 7F4C11A6
	v_cvt_i32_f32_e32 v167, v167                               // 00000000557C: 7F4E11A7
	v_perm_b32 v137, v165, v164, s53                           // 000000005580: D1ED0089 00D749A5
	v_perm_b32 v137, v166, v137, s54                           // 000000005588: D1ED0089 00DB13A6
	v_perm_b32 v137, v167, v137, s55                           // 000000005590: D1ED0089 00DF13A7
	v_rcp_f32_e32 v24, v22                                     // 000000005598: 7E304516
	v_rcp_f32_e32 v25, v23                                     // 00000000559C: 7E324517
	v_lshrrev_b32_e32 v50, 5, v0                               // 0000000055A0: 20640085
	v_lshlrev_b32_e32 v51, 5, v50                              // 0000000055A4: 24666485
	v_and_b32_e32 v50, 31, v0                                  // 0000000055A8: 2664009F
	v_lshrrev_b32_e32 v52, 4, v50                              // 0000000055AC: 20686484
	v_add_u32_e32 v51, v52, v51                                // 0000000055B0: 68666734
	v_and_b32_e32 v50, 15, v0                                  // 0000000055B4: 2664008F
	v_lshlrev_b32_e32 v50, 1, v50                              // 0000000055B8: 24646481
	v_add_u32_e32 v51, v50, v51                                // 0000000055BC: 68666732
	v_lshlrev_b32_e32 v50, 2, v51                              // 0000000055C0: 24646682
	s_mul_i32 s60, 0x100, s7                                   // 0000000055C4: 923C07FF 00000100
	v_add_u32_e64 v50, v50, s60                                // 0000000055CC: D1340032 00007932
	ds_write_b32 v50, v128 offset:18688                        // 0000000055D4: D81A4900 00008032
	ds_write_b32 v50, v129 offset:23808                        // 0000000055DC: D81A5D00 00008132
	ds_write_b32 v50, v130 offset:19712                        // 0000000055E4: D81A4D00 00008232
	ds_write_b32 v50, v131 offset:24832                        // 0000000055EC: D81A6100 00008332
	ds_write_b32 v50, v132 offset:20736                        // 0000000055F4: D81A5100 00008432
	ds_write_b32 v50, v133 offset:25856                        // 0000000055FC: D81A6500 00008532
	ds_write_b32 v50, v134 offset:21760                        // 000000005604: D81A5500 00008632
	ds_write_b32 v50, v135 offset:26880                        // 00000000560C: D81A6900 00008732
	ds_write_b32 v50, v136 offset:22784                        // 000000005614: D81A5900 00008832
	ds_write_b32 v50, v137 offset:27904                        // 00000000561C: D81A6D00 00008932
	s_waitcnt lgkmcnt(0)                                       // 000000005624: BF8CC07F
	s_barrier                                                  // 000000005628: BF8A0000
	v_lshrrev_b32_e32 v50, 4, v0                               // 00000000562C: 20640084
	v_lshlrev_b32_e32 v51, 6, v50                              // 000000005630: 24666486
	v_and_b32_e32 v50, 15, v0                                  // 000000005634: 2664008F
	v_lshlrev_b32_e32 v50, 1, v50                              // 000000005638: 24646481
	v_add_u32_e32 v51, v50, v51                                // 00000000563C: 68666732
	v_lshlrev_b32_e32 v50, 2, v51                              // 000000005640: 24646682
	ds_read_b64 v[128:129], v50 offset:18688                   // 000000005644: D8EC4900 80000032
	ds_read_b64 v[130:131], v50 offset:18816                   // 00000000564C: D8EC4980 82000032
	ds_read_b64 v[132:133], v50 offset:19712                   // 000000005654: D8EC4D00 84000032
	ds_read_b64 v[134:135], v50 offset:19840                   // 00000000565C: D8EC4D80 86000032
	ds_read_b64 v[136:137], v50 offset:20736                   // 000000005664: D8EC5100 88000032
	ds_read_b64 v[138:139], v50 offset:20864                   // 00000000566C: D8EC5180 8A000032
	ds_read_b64 v[140:141], v50 offset:21760                   // 000000005674: D8EC5500 8C000032
	ds_read_b64 v[142:143], v50 offset:21888                   // 00000000567C: D8EC5580 8E000032
	ds_read_b64 v[144:145], v50 offset:22784                   // 000000005684: D8EC5900 90000032
	ds_read_b64 v[146:147], v50 offset:22912                   // 00000000568C: D8EC5980 92000032
	ds_read_b64 v[148:149], v50 offset:23808                   // 000000005694: D8EC5D00 94000032
	ds_read_b64 v[150:151], v50 offset:23936                   // 00000000569C: D8EC5D80 96000032
	ds_read_b64 v[152:153], v50 offset:24832                   // 0000000056A4: D8EC6100 98000032
	ds_read_b64 v[154:155], v50 offset:24960                   // 0000000056AC: D8EC6180 9A000032
	ds_read_b64 v[156:157], v50 offset:25856                   // 0000000056B4: D8EC6500 9C000032
	ds_read_b64 v[158:159], v50 offset:25984                   // 0000000056BC: D8EC6580 9E000032
	ds_read_b64 v[160:161], v50 offset:26880                   // 0000000056C4: D8EC6900 A0000032
	ds_read_b64 v[162:163], v50 offset:27008                   // 0000000056CC: D8EC6980 A2000032
	ds_read_b64 v[164:165], v50 offset:27904                   // 0000000056D4: D8EC6D00 A4000032
	ds_read_b64 v[166:167], v50 offset:28032                   // 0000000056DC: D8EC6D80 A6000032
	s_add_u32 s12, s56, s12                                    // 0000000056E4: 800C0C38
	s_addc_u32 s13, 0, s13                                     // 0000000056E8: 820D0D80
	s_add_u32 s16, s79, s16                                    // 0000000056EC: 8010104F
	s_addc_u32 s17, 0, s17                                     // 0000000056F0: 82111180
	s_mov_b32 s80, 0                                           // 0000000056F4: BED00080
	s_waitcnt vmcnt(0) expcnt(0) lgkmcnt(0)                    // 0000000056F8: BF8C0000

00000000000056fc <label_0AFF>:
	s_waitcnt vmcnt(33)                                        // 0000000056FC: BF8C8F71
	s_barrier                                                  // 000000005700: BF8A0000
	v_mfma_i32_16x16x32_i8 v[168:171], a[0:1], v[128:129], 0   // 000000005704: D3D700A8 0A030100
	v_mfma_i32_16x16x32_i8 v[168:171], a[2:3], v[130:131], v[168:171]// 00000000570C: D3D700A8 0EA30502
	buffer_load_dwordx4 a[80:83], v39, s[12:15], 0 offen       // 000000005714: E05C1000 80835027
	v_mfma_i32_16x16x32_i8 v[172:175], a[0:1], v[148:149], 0   // 00000000571C: D3D700AC 0A032900
	v_mfma_i32_16x16x32_i8 v[172:175], a[2:3], v[150:151], v[172:175]// 000000005724: D3D700AC 0EB32D02
	v_mfma_i32_16x16x32_i8 v[176:179], a[4:5], v[128:129], 0   // 00000000572C: D3D700B0 0A030104
	v_mfma_i32_16x16x32_i8 v[176:179], a[6:7], v[130:131], v[176:179]// 000000005734: D3D700B0 0EC30506
	buffer_load_dwordx4 a[84:87], v40, s[12:15], 0 offen       // 00000000573C: E05C1000 80835428
	v_mfma_i32_16x16x32_i8 v[180:183], a[4:5], v[148:149], 0   // 000000005744: D3D700B4 0A032904
	v_mfma_i32_16x16x32_i8 v[180:183], a[6:7], v[150:151], v[180:183]// 00000000574C: D3D700B4 0ED32D06
	v_mfma_i32_16x16x32_i8 v[184:187], a[8:9], v[128:129], 0   // 000000005754: D3D700B8 0A030108
	v_mfma_i32_16x16x32_i8 v[184:187], a[10:11], v[130:131], v[184:187]// 00000000575C: D3D700B8 0EE3050A
	buffer_load_dwordx4 a[88:91], v41, s[12:15], 0 offen       // 000000005764: E05C1000 80835829
	v_mfma_i32_16x16x32_i8 v[188:191], a[8:9], v[148:149], 0   // 00000000576C: D3D700BC 0A032908
	v_mfma_i32_16x16x32_i8 v[188:191], a[10:11], v[150:151], v[188:191]// 000000005774: D3D700BC 0EF32D0A
	v_mfma_i32_16x16x32_i8 v[192:195], a[12:13], v[128:129], 0 // 00000000577C: D3D700C0 0A03010C
	v_mfma_i32_16x16x32_i8 v[192:195], a[14:15], v[130:131], v[192:195]// 000000005784: D3D700C0 0F03050E
	buffer_load_dwordx4 a[92:95], v42, s[12:15], 0 offen       // 00000000578C: E05C1000 80835C2A
	s_add_u32 s12, s78, s12                                    // 000000005794: 800C0C4E
	s_addc_u32 s13, 0, s13                                     // 000000005798: 820D0D80
	v_mfma_i32_16x16x32_i8 v[196:199], a[12:13], v[148:149], 0 // 00000000579C: D3D700C4 0A03290C
	v_mfma_i32_16x16x32_i8 v[196:199], a[14:15], v[150:151], v[196:199]// 0000000057A4: D3D700C4 0F132D0E
	s_waitcnt vmcnt(33)                                        // 0000000057AC: BF8C8F71
	v_mfma_i32_16x16x32_i8 v[168:171], a[16:17], v[132:133], v[168:171]// 0000000057B0: D3D700A8 0EA30910
	v_mfma_i32_16x16x32_i8 v[168:171], a[18:19], v[134:135], v[168:171]// 0000000057B8: D3D700A8 0EA30D12
	buffer_load_dwordx4 a[96:99], v39, s[12:15], 0 offen       // 0000000057C0: E05C1000 80836027
	v_mfma_i32_16x16x32_i8 v[172:175], a[16:17], v[152:153], v[172:175]// 0000000057C8: D3D700AC 0EB33110
	v_mfma_i32_16x16x32_i8 v[172:175], a[18:19], v[154:155], v[172:175]// 0000000057D0: D3D700AC 0EB33512
	v_mfma_i32_16x16x32_i8 v[176:179], a[20:21], v[132:133], v[176:179]// 0000000057D8: D3D700B0 0EC30914
	v_mfma_i32_16x16x32_i8 v[176:179], a[22:23], v[134:135], v[176:179]// 0000000057E0: D3D700B0 0EC30D16
	buffer_load_dwordx4 a[100:103], v40, s[12:15], 0 offen     // 0000000057E8: E05C1000 80836428
	v_mfma_i32_16x16x32_i8 v[180:183], a[20:21], v[152:153], v[180:183]// 0000000057F0: D3D700B4 0ED33114
	v_mfma_i32_16x16x32_i8 v[180:183], a[22:23], v[154:155], v[180:183]// 0000000057F8: D3D700B4 0ED33516
	v_mfma_i32_16x16x32_i8 v[184:187], a[24:25], v[132:133], v[184:187]// 000000005800: D3D700B8 0EE30918
	v_mfma_i32_16x16x32_i8 v[184:187], a[26:27], v[134:135], v[184:187]// 000000005808: D3D700B8 0EE30D1A
	buffer_load_dwordx4 a[104:107], v41, s[12:15], 0 offen     // 000000005810: E05C1000 80836829
	v_mfma_i32_16x16x32_i8 v[188:191], a[24:25], v[152:153], v[188:191]// 000000005818: D3D700BC 0EF33118
	v_mfma_i32_16x16x32_i8 v[188:191], a[26:27], v[154:155], v[188:191]// 000000005820: D3D700BC 0EF3351A
	v_mfma_i32_16x16x32_i8 v[192:195], a[28:29], v[132:133], v[192:195]// 000000005828: D3D700C0 0F03091C
	v_mfma_i32_16x16x32_i8 v[192:195], a[30:31], v[134:135], v[192:195]// 000000005830: D3D700C0 0F030D1E
	buffer_load_dwordx4 a[108:111], v42, s[12:15], 0 offen     // 000000005838: E05C1000 80836C2A
	s_add_u32 s12, s78, s12                                    // 000000005840: 800C0C4E
	s_addc_u32 s13, 0, s13                                     // 000000005844: 820D0D80
	v_mfma_i32_16x16x32_i8 v[196:199], a[28:29], v[152:153], v[196:199]// 000000005848: D3D700C4 0F13311C
	v_mfma_i32_16x16x32_i8 v[196:199], a[30:31], v[154:155], v[196:199]// 000000005850: D3D700C4 0F13351E
	s_waitcnt vmcnt(33)                                        // 000000005858: BF8C8F71
	v_mfma_i32_16x16x32_i8 v[168:171], a[32:33], v[136:137], v[168:171]// 00000000585C: D3D700A8 0EA31120
	v_mfma_i32_16x16x32_i8 v[168:171], a[34:35], v[138:139], v[168:171]// 000000005864: D3D700A8 0EA31522
	buffer_load_dwordx4 a[112:115], v39, s[12:15], 0 offen     // 00000000586C: E05C1000 80837027
	v_mfma_i32_16x16x32_i8 v[172:175], a[32:33], v[156:157], v[172:175]// 000000005874: D3D700AC 0EB33920
	v_mfma_i32_16x16x32_i8 v[172:175], a[34:35], v[158:159], v[172:175]// 00000000587C: D3D700AC 0EB33D22
	v_mfma_i32_16x16x32_i8 v[176:179], a[36:37], v[136:137], v[176:179]// 000000005884: D3D700B0 0EC31124
	v_mfma_i32_16x16x32_i8 v[176:179], a[38:39], v[138:139], v[176:179]// 00000000588C: D3D700B0 0EC31526
	buffer_load_dwordx4 a[116:119], v40, s[12:15], 0 offen     // 000000005894: E05C1000 80837428
	v_mfma_i32_16x16x32_i8 v[180:183], a[36:37], v[156:157], v[180:183]// 00000000589C: D3D700B4 0ED33924
	v_mfma_i32_16x16x32_i8 v[180:183], a[38:39], v[158:159], v[180:183]// 0000000058A4: D3D700B4 0ED33D26
	v_mfma_i32_16x16x32_i8 v[184:187], a[40:41], v[136:137], v[184:187]// 0000000058AC: D3D700B8 0EE31128
	v_mfma_i32_16x16x32_i8 v[184:187], a[42:43], v[138:139], v[184:187]// 0000000058B4: D3D700B8 0EE3152A
	buffer_load_dwordx4 a[120:123], v41, s[12:15], 0 offen     // 0000000058BC: E05C1000 80837829
	v_mfma_i32_16x16x32_i8 v[188:191], a[40:41], v[156:157], v[188:191]// 0000000058C4: D3D700BC 0EF33928
	v_mfma_i32_16x16x32_i8 v[188:191], a[42:43], v[158:159], v[188:191]// 0000000058CC: D3D700BC 0EF33D2A
	v_mfma_i32_16x16x32_i8 v[192:195], a[44:45], v[136:137], v[192:195]// 0000000058D4: D3D700C0 0F03112C
	v_mfma_i32_16x16x32_i8 v[192:195], a[46:47], v[138:139], v[192:195]// 0000000058DC: D3D700C0 0F03152E
	buffer_load_dwordx4 a[124:127], v42, s[12:15], 0 offen     // 0000000058E4: E05C1000 80837C2A
	s_add_u32 s12, s78, s12                                    // 0000000058EC: 800C0C4E
	s_addc_u32 s13, 0, s13                                     // 0000000058F0: 820D0D80
	v_mfma_i32_16x16x32_i8 v[196:199], a[44:45], v[156:157], v[196:199]// 0000000058F4: D3D700C4 0F13392C
	v_mfma_i32_16x16x32_i8 v[196:199], a[46:47], v[158:159], v[196:199]// 0000000058FC: D3D700C4 0F133D2E
	s_waitcnt vmcnt(33)                                        // 000000005904: BF8C8F71
	v_mfma_i32_16x16x32_i8 v[168:171], a[48:49], v[140:141], v[168:171]// 000000005908: D3D700A8 0EA31930
	v_mfma_i32_16x16x32_i8 v[168:171], a[50:51], v[142:143], v[168:171]// 000000005910: D3D700A8 0EA31D32
	buffer_load_dwordx4 a[128:131], v39, s[12:15], 0 offen     // 000000005918: E05C1000 80838027
	v_mfma_i32_16x16x32_i8 v[172:175], a[48:49], v[160:161], v[172:175]// 000000005920: D3D700AC 0EB34130
	v_mfma_i32_16x16x32_i8 v[172:175], a[50:51], v[162:163], v[172:175]// 000000005928: D3D700AC 0EB34532
	v_mfma_i32_16x16x32_i8 v[176:179], a[52:53], v[140:141], v[176:179]// 000000005930: D3D700B0 0EC31934
	v_mfma_i32_16x16x32_i8 v[176:179], a[54:55], v[142:143], v[176:179]// 000000005938: D3D700B0 0EC31D36
	buffer_load_dwordx4 a[132:135], v40, s[12:15], 0 offen     // 000000005940: E05C1000 80838428
	v_mfma_i32_16x16x32_i8 v[180:183], a[52:53], v[160:161], v[180:183]// 000000005948: D3D700B4 0ED34134
	v_mfma_i32_16x16x32_i8 v[180:183], a[54:55], v[162:163], v[180:183]// 000000005950: D3D700B4 0ED34536
	v_mfma_i32_16x16x32_i8 v[184:187], a[56:57], v[140:141], v[184:187]// 000000005958: D3D700B8 0EE31938
	v_mfma_i32_16x16x32_i8 v[184:187], a[58:59], v[142:143], v[184:187]// 000000005960: D3D700B8 0EE31D3A
	buffer_load_dwordx4 a[136:139], v41, s[12:15], 0 offen     // 000000005968: E05C1000 80838829
	v_mfma_i32_16x16x32_i8 v[188:191], a[56:57], v[160:161], v[188:191]// 000000005970: D3D700BC 0EF34138
	v_mfma_i32_16x16x32_i8 v[188:191], a[58:59], v[162:163], v[188:191]// 000000005978: D3D700BC 0EF3453A
	v_mfma_i32_16x16x32_i8 v[192:195], a[60:61], v[140:141], v[192:195]// 000000005980: D3D700C0 0F03193C
	v_mfma_i32_16x16x32_i8 v[192:195], a[62:63], v[142:143], v[192:195]// 000000005988: D3D700C0 0F031D3E
	buffer_load_dwordx4 a[140:143], v42, s[12:15], 0 offen     // 000000005990: E05C1000 80838C2A
	s_add_u32 s12, s78, s12                                    // 000000005998: 800C0C4E
	s_addc_u32 s13, 0, s13                                     // 00000000599C: 820D0D80
	v_mfma_i32_16x16x32_i8 v[196:199], a[60:61], v[160:161], v[196:199]// 0000000059A0: D3D700C4 0F13413C
	v_mfma_i32_16x16x32_i8 v[196:199], a[62:63], v[162:163], v[196:199]// 0000000059A8: D3D700C4 0F13453E
	s_waitcnt vmcnt(32)                                        // 0000000059B0: BF8C8F70
	v_mfma_i32_16x16x32_i8 v[168:171], a[64:65], v[144:145], v[168:171]// 0000000059B4: D3D700A8 0EA32140
	v_mfma_i32_16x16x32_i8 v[168:171], a[66:67], v[146:147], v[168:171]// 0000000059BC: D3D700A8 0EA32542
	buffer_load_dwordx4 a[144:147], v39, s[12:15], 0 offen     // 0000000059C4: E05C1000 80839027
	v_mfma_i32_16x16x32_i8 v[172:175], a[64:65], v[164:165], v[172:175]// 0000000059CC: D3D700AC 0EB34940
	v_mfma_i32_16x16x32_i8 v[172:175], a[66:67], v[166:167], v[172:175]// 0000000059D4: D3D700AC 0EB34D42
	buffer_load_dword v13, v5, s[16:19], 0 offen               // 0000000059DC: E0501000 80040D05
	v_mfma_i32_16x16x32_i8 v[176:179], a[68:69], v[144:145], v[176:179]// 0000000059E4: D3D700B0 0EC32144
	v_mfma_i32_16x16x32_i8 v[176:179], a[70:71], v[146:147], v[176:179]// 0000000059EC: D3D700B0 0EC32546
	buffer_load_dwordx4 a[148:151], v40, s[12:15], 0 offen     // 0000000059F4: E05C1000 80839428
	v_mfma_i32_16x16x32_i8 v[180:183], a[68:69], v[164:165], v[180:183]// 0000000059FC: D3D700B4 0ED34944
	v_mfma_i32_16x16x32_i8 v[180:183], a[70:71], v[166:167], v[180:183]// 000000005A04: D3D700B4 0ED34D46
	v_mfma_i32_16x16x32_i8 v[184:187], a[72:73], v[144:145], v[184:187]// 000000005A0C: D3D700B8 0EE32148
	v_mfma_i32_16x16x32_i8 v[184:187], a[74:75], v[146:147], v[184:187]// 000000005A14: D3D700B8 0EE3254A
	buffer_load_dwordx4 a[152:155], v41, s[12:15], 0 offen     // 000000005A1C: E05C1000 80839829
	v_mfma_i32_16x16x32_i8 v[188:191], a[72:73], v[164:165], v[188:191]// 000000005A24: D3D700BC 0EF34948
	v_mfma_i32_16x16x32_i8 v[188:191], a[74:75], v[166:167], v[188:191]// 000000005A2C: D3D700BC 0EF34D4A
	v_mfma_i32_16x16x32_i8 v[192:195], a[76:77], v[144:145], v[192:195]// 000000005A34: D3D700C0 0F03214C
	v_mfma_i32_16x16x32_i8 v[192:195], a[78:79], v[146:147], v[192:195]// 000000005A3C: D3D700C0 0F03254E
	buffer_load_dwordx4 a[156:159], v42, s[12:15], 0 offen     // 000000005A44: E05C1000 80839C2A
	v_mfma_i32_16x16x32_i8 v[196:199], a[76:77], v[164:165], v[196:199]// 000000005A4C: D3D700C4 0F13494C
	v_mfma_i32_16x16x32_i8 v[196:199], a[78:79], v[166:167], v[196:199]// 000000005A54: D3D700C4 0F134D4E
	s_add_u32 s60, 0x200, s80                                  // 000000005A5C: 803C50FF 00000200
	s_cmp_lt_u32 s60, s81                                      // 000000005A64: BF0A513C
	s_cselect_b32 s56, s56, 0                                  // 000000005A68: 85388038
	s_cselect_b32 s78, s78, 0                                  // 000000005A6C: 854E804E
	s_cselect_b32 s79, s79, 0                                  // 000000005A70: 854F804F
	s_add_u32 s12, s56, s12                                    // 000000005A74: 800C0C38
	s_addc_u32 s13, 0, s13                                     // 000000005A78: 820D0D80
	s_add_u32 s16, s79, s16                                    // 000000005A7C: 8010104F
	s_addc_u32 s17, 0, s17                                     // 000000005A80: 82111180
	v_cvt_f32_i32_e32 v168, v168                               // 000000005A84: 7F500BA8
	v_cvt_f32_i32_e32 v169, v169                               // 000000005A88: 7F520BA9
	v_cvt_f32_i32_e32 v170, v170                               // 000000005A8C: 7F540BAA
	v_cvt_f32_i32_e32 v171, v171                               // 000000005A90: 7F560BAB
	v_mul_f32_e32 v168, v24, v168                              // 000000005A94: 0B515118
	v_mul_f32_e32 v169, v24, v169                              // 000000005A98: 0B535318
	v_mul_f32_e32 v170, v24, v170                              // 000000005A9C: 0B555518
	v_mul_f32_e32 v171, v24, v171                              // 000000005AA0: 0B575718
	v_mul_f32_dpp v168, v12, v168 row_newbcast:0 row_mask:0xf bank_mask:0xf// 000000005AA4: 0B5150FA FF01500C
	v_mul_f32_dpp v169, v12, v169 row_newbcast:1 row_mask:0xf bank_mask:0xf// 000000005AAC: 0B5352FA FF01510C
	v_mul_f32_dpp v170, v12, v170 row_newbcast:2 row_mask:0xf bank_mask:0xf// 000000005AB4: 0B5554FA FF01520C
	v_mul_f32_dpp v171, v12, v171 row_newbcast:3 row_mask:0xf bank_mask:0xf// 000000005ABC: 0B5756FA FF01530C
	v_mul_f32_e32 v168, v20, v168                              // 000000005AC4: 0B515114
	v_mul_f32_e32 v169, v20, v169                              // 000000005AC8: 0B535314
	v_mul_f32_e32 v170, v20, v170                              // 000000005ACC: 0B555514
	v_mul_f32_e32 v171, v20, v171                              // 000000005AD0: 0B575714
	v_cvt_f32_i32_e32 v172, v172                               // 000000005AD4: 7F580BAC
	v_cvt_f32_i32_e32 v173, v173                               // 000000005AD8: 7F5A0BAD
	v_cvt_f32_i32_e32 v174, v174                               // 000000005ADC: 7F5C0BAE
	v_cvt_f32_i32_e32 v175, v175                               // 000000005AE0: 7F5E0BAF
	v_mul_f32_e32 v172, v25, v172                              // 000000005AE4: 0B595919
	v_mul_f32_e32 v173, v25, v173                              // 000000005AE8: 0B5B5B19
	v_mul_f32_e32 v174, v25, v174                              // 000000005AEC: 0B5D5D19
	v_mul_f32_e32 v175, v25, v175                              // 000000005AF0: 0B5F5F19
	v_mul_f32_dpp v172, v12, v172 row_newbcast:0 row_mask:0xf bank_mask:0xf// 000000005AF4: 0B5958FA FF01500C
	v_mul_f32_dpp v173, v12, v173 row_newbcast:1 row_mask:0xf bank_mask:0xf// 000000005AFC: 0B5B5AFA FF01510C
	v_mul_f32_dpp v174, v12, v174 row_newbcast:2 row_mask:0xf bank_mask:0xf// 000000005B04: 0B5D5CFA FF01520C
	v_mul_f32_dpp v175, v12, v175 row_newbcast:3 row_mask:0xf bank_mask:0xf// 000000005B0C: 0B5F5EFA FF01530C
	v_mul_f32_e32 v172, v21, v172                              // 000000005B14: 0B595915
	v_mul_f32_e32 v173, v21, v173                              // 000000005B18: 0B5B5B15
	v_mul_f32_e32 v174, v21, v174                              // 000000005B1C: 0B5D5D15
	v_mul_f32_e32 v175, v21, v175                              // 000000005B20: 0B5F5F15
	v_cvt_f32_i32_e32 v176, v176                               // 000000005B24: 7F600BB0
	v_cvt_f32_i32_e32 v177, v177                               // 000000005B28: 7F620BB1
	v_cvt_f32_i32_e32 v178, v178                               // 000000005B2C: 7F640BB2
	v_cvt_f32_i32_e32 v179, v179                               // 000000005B30: 7F660BB3
	v_mul_f32_e32 v176, v24, v176                              // 000000005B34: 0B616118
	v_mul_f32_e32 v177, v24, v177                              // 000000005B38: 0B636318
	v_mul_f32_e32 v178, v24, v178                              // 000000005B3C: 0B656518
	v_mul_f32_e32 v179, v24, v179                              // 000000005B40: 0B676718
	v_mul_f32_dpp v176, v12, v176 row_newbcast:4 row_mask:0xf bank_mask:0xf// 000000005B44: 0B6160FA FF01540C
	v_mul_f32_dpp v177, v12, v177 row_newbcast:5 row_mask:0xf bank_mask:0xf// 000000005B4C: 0B6362FA FF01550C
	v_mul_f32_dpp v178, v12, v178 row_newbcast:6 row_mask:0xf bank_mask:0xf// 000000005B54: 0B6564FA FF01560C
	v_mul_f32_dpp v179, v12, v179 row_newbcast:7 row_mask:0xf bank_mask:0xf// 000000005B5C: 0B6766FA FF01570C
	v_mul_f32_e32 v176, v20, v176                              // 000000005B64: 0B616114
	v_mul_f32_e32 v177, v20, v177                              // 000000005B68: 0B636314
	v_mul_f32_e32 v178, v20, v178                              // 000000005B6C: 0B656514
	v_mul_f32_e32 v179, v20, v179                              // 000000005B70: 0B676714
	v_cvt_f32_i32_e32 v180, v180                               // 000000005B74: 7F680BB4
	v_cvt_f32_i32_e32 v181, v181                               // 000000005B78: 7F6A0BB5
	v_cvt_f32_i32_e32 v182, v182                               // 000000005B7C: 7F6C0BB6
	v_cvt_f32_i32_e32 v183, v183                               // 000000005B80: 7F6E0BB7
	v_mul_f32_e32 v180, v25, v180                              // 000000005B84: 0B696919
	v_mul_f32_e32 v181, v25, v181                              // 000000005B88: 0B6B6B19
	v_mul_f32_e32 v182, v25, v182                              // 000000005B8C: 0B6D6D19
	v_mul_f32_e32 v183, v25, v183                              // 000000005B90: 0B6F6F19
	v_mul_f32_dpp v180, v12, v180 row_newbcast:4 row_mask:0xf bank_mask:0xf// 000000005B94: 0B6968FA FF01540C
	v_mul_f32_dpp v181, v12, v181 row_newbcast:5 row_mask:0xf bank_mask:0xf// 000000005B9C: 0B6B6AFA FF01550C
	v_mul_f32_dpp v182, v12, v182 row_newbcast:6 row_mask:0xf bank_mask:0xf// 000000005BA4: 0B6D6CFA FF01560C
	v_mul_f32_dpp v183, v12, v183 row_newbcast:7 row_mask:0xf bank_mask:0xf// 000000005BAC: 0B6F6EFA FF01570C
	v_mul_f32_e32 v180, v21, v180                              // 000000005BB4: 0B696915
	v_mul_f32_e32 v181, v21, v181                              // 000000005BB8: 0B6B6B15
	v_mul_f32_e32 v182, v21, v182                              // 000000005BBC: 0B6D6D15
	v_mul_f32_e32 v183, v21, v183                              // 000000005BC0: 0B6F6F15
	v_cvt_f32_i32_e32 v184, v184                               // 000000005BC4: 7F700BB8
	v_cvt_f32_i32_e32 v185, v185                               // 000000005BC8: 7F720BB9
	v_cvt_f32_i32_e32 v186, v186                               // 000000005BCC: 7F740BBA
	v_cvt_f32_i32_e32 v187, v187                               // 000000005BD0: 7F760BBB
	v_mul_f32_e32 v184, v24, v184                              // 000000005BD4: 0B717118
	v_mul_f32_e32 v185, v24, v185                              // 000000005BD8: 0B737318
	v_mul_f32_e32 v186, v24, v186                              // 000000005BDC: 0B757518
	v_mul_f32_e32 v187, v24, v187                              // 000000005BE0: 0B777718
	v_mul_f32_dpp v184, v12, v184 row_newbcast:8 row_mask:0xf bank_mask:0xf// 000000005BE4: 0B7170FA FF01580C
	v_mul_f32_dpp v185, v12, v185 row_newbcast:9 row_mask:0xf bank_mask:0xf// 000000005BEC: 0B7372FA FF01590C
	v_mul_f32_dpp v186, v12, v186 row_newbcast:10 row_mask:0xf bank_mask:0xf// 000000005BF4: 0B7574FA FF015A0C
	v_mul_f32_dpp v187, v12, v187 row_newbcast:11 row_mask:0xf bank_mask:0xf// 000000005BFC: 0B7776FA FF015B0C
	v_mul_f32_e32 v184, v20, v184                              // 000000005C04: 0B717114
	v_mul_f32_e32 v185, v20, v185                              // 000000005C08: 0B737314
	v_mul_f32_e32 v186, v20, v186                              // 000000005C0C: 0B757514
	v_mul_f32_e32 v187, v20, v187                              // 000000005C10: 0B777714
	v_cvt_f32_i32_e32 v188, v188                               // 000000005C14: 7F780BBC
	v_cvt_f32_i32_e32 v189, v189                               // 000000005C18: 7F7A0BBD
	v_cvt_f32_i32_e32 v190, v190                               // 000000005C1C: 7F7C0BBE
	v_cvt_f32_i32_e32 v191, v191                               // 000000005C20: 7F7E0BBF
	v_mul_f32_e32 v188, v25, v188                              // 000000005C24: 0B797919
	v_mul_f32_e32 v189, v25, v189                              // 000000005C28: 0B7B7B19
	v_mul_f32_e32 v190, v25, v190                              // 000000005C2C: 0B7D7D19
	v_mul_f32_e32 v191, v25, v191                              // 000000005C30: 0B7F7F19
	v_mul_f32_dpp v188, v12, v188 row_newbcast:8 row_mask:0xf bank_mask:0xf// 000000005C34: 0B7978FA FF01580C
	v_mul_f32_dpp v189, v12, v189 row_newbcast:9 row_mask:0xf bank_mask:0xf// 000000005C3C: 0B7B7AFA FF01590C
	v_mul_f32_dpp v190, v12, v190 row_newbcast:10 row_mask:0xf bank_mask:0xf// 000000005C44: 0B7D7CFA FF015A0C
	v_mul_f32_dpp v191, v12, v191 row_newbcast:11 row_mask:0xf bank_mask:0xf// 000000005C4C: 0B7F7EFA FF015B0C
	v_mul_f32_e32 v188, v21, v188                              // 000000005C54: 0B797915
	v_mul_f32_e32 v189, v21, v189                              // 000000005C58: 0B7B7B15
	v_mul_f32_e32 v190, v21, v190                              // 000000005C5C: 0B7D7D15
	v_mul_f32_e32 v191, v21, v191                              // 000000005C60: 0B7F7F15
	v_cvt_f32_i32_e32 v192, v192                               // 000000005C64: 7F800BC0
	v_cvt_f32_i32_e32 v193, v193                               // 000000005C68: 7F820BC1
	v_cvt_f32_i32_e32 v194, v194                               // 000000005C6C: 7F840BC2
	v_cvt_f32_i32_e32 v195, v195                               // 000000005C70: 7F860BC3
	v_mul_f32_e32 v192, v24, v192                              // 000000005C74: 0B818118
	v_mul_f32_e32 v193, v24, v193                              // 000000005C78: 0B838318
	v_mul_f32_e32 v194, v24, v194                              // 000000005C7C: 0B858518
	v_mul_f32_e32 v195, v24, v195                              // 000000005C80: 0B878718
	v_mul_f32_dpp v192, v12, v192 row_newbcast:12 row_mask:0xf bank_mask:0xf// 000000005C84: 0B8180FA FF015C0C
	v_mul_f32_dpp v193, v12, v193 row_newbcast:13 row_mask:0xf bank_mask:0xf// 000000005C8C: 0B8382FA FF015D0C
	v_mul_f32_dpp v194, v12, v194 row_newbcast:14 row_mask:0xf bank_mask:0xf// 000000005C94: 0B8584FA FF015E0C
	v_mul_f32_dpp v195, v12, v195 row_newbcast:15 row_mask:0xf bank_mask:0xf// 000000005C9C: 0B8786FA FF015F0C
	v_mul_f32_e32 v192, v20, v192                              // 000000005CA4: 0B818114
	v_mul_f32_e32 v193, v20, v193                              // 000000005CA8: 0B838314
	v_mul_f32_e32 v194, v20, v194                              // 000000005CAC: 0B858514
	v_mul_f32_e32 v195, v20, v195                              // 000000005CB0: 0B878714
	v_cvt_f32_i32_e32 v196, v196                               // 000000005CB4: 7F880BC4
	v_cvt_f32_i32_e32 v197, v197                               // 000000005CB8: 7F8A0BC5
	v_cvt_f32_i32_e32 v198, v198                               // 000000005CBC: 7F8C0BC6
	v_cvt_f32_i32_e32 v199, v199                               // 000000005CC0: 7F8E0BC7
	v_mul_f32_e32 v196, v25, v196                              // 000000005CC4: 0B898919
	v_mul_f32_e32 v197, v25, v197                              // 000000005CC8: 0B8B8B19
	v_mul_f32_e32 v198, v25, v198                              // 000000005CCC: 0B8D8D19
	v_mul_f32_e32 v199, v25, v199                              // 000000005CD0: 0B8F8F19
	v_mul_f32_dpp v196, v12, v196 row_newbcast:12 row_mask:0xf bank_mask:0xf// 000000005CD4: 0B8988FA FF015C0C
	v_mul_f32_dpp v197, v12, v197 row_newbcast:13 row_mask:0xf bank_mask:0xf// 000000005CDC: 0B8B8AFA FF015D0C
	v_mul_f32_dpp v198, v12, v198 row_newbcast:14 row_mask:0xf bank_mask:0xf// 000000005CE4: 0B8D8CFA FF015E0C
	v_mul_f32_dpp v199, v12, v199 row_newbcast:15 row_mask:0xf bank_mask:0xf// 000000005CEC: 0B8F8EFA FF015F0C
	v_mul_f32_e32 v196, v21, v196                              // 000000005CF4: 0B898915
	v_mul_f32_e32 v197, v21, v197                              // 000000005CF8: 0B8B8B15
	v_mul_f32_e32 v198, v21, v198                              // 000000005CFC: 0B8D8D15
	v_mul_f32_e32 v199, v21, v199                              // 000000005D00: 0B8F8F15
	v_cmp_u_f32_e64 s[48:49], v168, v168                       // 000000005D04: D0480030 000351A8
	v_add3_u32 v43, v168, v46, 1                               // 000000005D0C: D1FF002B 02065DA8
	v_cndmask_b32_e64 v50, v43, v45, s[48:49]                  // 000000005D14: D1000032 00C25B2B
	v_cmp_u_f32_e64 s[48:49], v169, v169                       // 000000005D1C: D0480030 000353A9
	v_add3_u32 v43, v169, v46, 1                               // 000000005D24: D1FF002B 02065DA9
	v_cndmask_b32_e64 v51, v43, v45, s[48:49]                  // 000000005D2C: D1000033 00C25B2B
	v_perm_b32 v168, v51, v50, s52                             // 000000005D34: D1ED00A8 00D26533
	v_cmp_u_f32_e64 s[48:49], v170, v170                       // 000000005D3C: D0480030 000355AA
	v_add3_u32 v43, v170, v46, 1                               // 000000005D44: D1FF002B 02065DAA
	v_cndmask_b32_e64 v50, v43, v45, s[48:49]                  // 000000005D4C: D1000032 00C25B2B
	v_cmp_u_f32_e64 s[48:49], v171, v171                       // 000000005D54: D0480030 000357AB
	v_add3_u32 v43, v171, v46, 1                               // 000000005D5C: D1FF002B 02065DAB
	v_cndmask_b32_e64 v51, v43, v45, s[48:49]                  // 000000005D64: D1000033 00C25B2B
	v_perm_b32 v169, v51, v50, s52                             // 000000005D6C: D1ED00A9 00D26533
	v_cmp_u_f32_e64 s[48:49], v172, v172                       // 000000005D74: D0480030 000359AC
	v_add3_u32 v43, v172, v46, 1                               // 000000005D7C: D1FF002B 02065DAC
	v_cndmask_b32_e64 v50, v43, v45, s[48:49]                  // 000000005D84: D1000032 00C25B2B
	v_cmp_u_f32_e64 s[48:49], v173, v173                       // 000000005D8C: D0480030 00035BAD
	v_add3_u32 v43, v173, v46, 1                               // 000000005D94: D1FF002B 02065DAD
	v_cndmask_b32_e64 v51, v43, v45, s[48:49]                  // 000000005D9C: D1000033 00C25B2B
	v_perm_b32 v170, v51, v50, s52                             // 000000005DA4: D1ED00AA 00D26533
	v_cmp_u_f32_e64 s[48:49], v174, v174                       // 000000005DAC: D0480030 00035DAE
	v_add3_u32 v43, v174, v46, 1                               // 000000005DB4: D1FF002B 02065DAE
	v_cndmask_b32_e64 v50, v43, v45, s[48:49]                  // 000000005DBC: D1000032 00C25B2B
	v_cmp_u_f32_e64 s[48:49], v175, v175                       // 000000005DC4: D0480030 00035FAF
	v_add3_u32 v43, v175, v46, 1                               // 000000005DCC: D1FF002B 02065DAF
	v_cndmask_b32_e64 v51, v43, v45, s[48:49]                  // 000000005DD4: D1000033 00C25B2B
	v_perm_b32 v171, v51, v50, s52                             // 000000005DDC: D1ED00AB 00D26533
	v_cmp_u_f32_e64 s[48:49], v176, v176                       // 000000005DE4: D0480030 000361B0
	v_add3_u32 v43, v176, v46, 1                               // 000000005DEC: D1FF002B 02065DB0
	v_cndmask_b32_e64 v50, v43, v45, s[48:49]                  // 000000005DF4: D1000032 00C25B2B
	v_cmp_u_f32_e64 s[48:49], v177, v177                       // 000000005DFC: D0480030 000363B1
	v_add3_u32 v43, v177, v46, 1                               // 000000005E04: D1FF002B 02065DB1
	v_cndmask_b32_e64 v51, v43, v45, s[48:49]                  // 000000005E0C: D1000033 00C25B2B
	v_perm_b32 v172, v51, v50, s52                             // 000000005E14: D1ED00AC 00D26533
	v_cmp_u_f32_e64 s[48:49], v178, v178                       // 000000005E1C: D0480030 000365B2
	v_add3_u32 v43, v178, v46, 1                               // 000000005E24: D1FF002B 02065DB2
	v_cndmask_b32_e64 v50, v43, v45, s[48:49]                  // 000000005E2C: D1000032 00C25B2B
	v_cmp_u_f32_e64 s[48:49], v179, v179                       // 000000005E34: D0480030 000367B3
	v_add3_u32 v43, v179, v46, 1                               // 000000005E3C: D1FF002B 02065DB3
	v_cndmask_b32_e64 v51, v43, v45, s[48:49]                  // 000000005E44: D1000033 00C25B2B
	v_perm_b32 v173, v51, v50, s52                             // 000000005E4C: D1ED00AD 00D26533
	v_cmp_u_f32_e64 s[48:49], v180, v180                       // 000000005E54: D0480030 000369B4
	v_add3_u32 v43, v180, v46, 1                               // 000000005E5C: D1FF002B 02065DB4
	v_cndmask_b32_e64 v50, v43, v45, s[48:49]                  // 000000005E64: D1000032 00C25B2B
	v_cmp_u_f32_e64 s[48:49], v181, v181                       // 000000005E6C: D0480030 00036BB5
	v_add3_u32 v43, v181, v46, 1                               // 000000005E74: D1FF002B 02065DB5
	v_cndmask_b32_e64 v51, v43, v45, s[48:49]                  // 000000005E7C: D1000033 00C25B2B
	v_perm_b32 v174, v51, v50, s52                             // 000000005E84: D1ED00AE 00D26533
	v_cmp_u_f32_e64 s[48:49], v182, v182                       // 000000005E8C: D0480030 00036DB6
	v_add3_u32 v43, v182, v46, 1                               // 000000005E94: D1FF002B 02065DB6
	v_cndmask_b32_e64 v50, v43, v45, s[48:49]                  // 000000005E9C: D1000032 00C25B2B
	v_cmp_u_f32_e64 s[48:49], v183, v183                       // 000000005EA4: D0480030 00036FB7
	v_add3_u32 v43, v183, v46, 1                               // 000000005EAC: D1FF002B 02065DB7
	v_cndmask_b32_e64 v51, v43, v45, s[48:49]                  // 000000005EB4: D1000033 00C25B2B
	v_perm_b32 v175, v51, v50, s52                             // 000000005EBC: D1ED00AF 00D26533
	v_cmp_u_f32_e64 s[48:49], v184, v184                       // 000000005EC4: D0480030 000371B8
	v_add3_u32 v43, v184, v46, 1                               // 000000005ECC: D1FF002B 02065DB8
	v_cndmask_b32_e64 v50, v43, v45, s[48:49]                  // 000000005ED4: D1000032 00C25B2B
	v_cmp_u_f32_e64 s[48:49], v185, v185                       // 000000005EDC: D0480030 000373B9
	v_add3_u32 v43, v185, v46, 1                               // 000000005EE4: D1FF002B 02065DB9
	v_cndmask_b32_e64 v51, v43, v45, s[48:49]                  // 000000005EEC: D1000033 00C25B2B
	v_perm_b32 v176, v51, v50, s52                             // 000000005EF4: D1ED00B0 00D26533
	v_cmp_u_f32_e64 s[48:49], v186, v186                       // 000000005EFC: D0480030 000375BA
	v_add3_u32 v43, v186, v46, 1                               // 000000005F04: D1FF002B 02065DBA
	v_cndmask_b32_e64 v50, v43, v45, s[48:49]                  // 000000005F0C: D1000032 00C25B2B
	v_cmp_u_f32_e64 s[48:49], v187, v187                       // 000000005F14: D0480030 000377BB
	v_add3_u32 v43, v187, v46, 1                               // 000000005F1C: D1FF002B 02065DBB
	v_cndmask_b32_e64 v51, v43, v45, s[48:49]                  // 000000005F24: D1000033 00C25B2B
	v_perm_b32 v177, v51, v50, s52                             // 000000005F2C: D1ED00B1 00D26533
	v_cmp_u_f32_e64 s[48:49], v188, v188                       // 000000005F34: D0480030 000379BC
	v_add3_u32 v43, v188, v46, 1                               // 000000005F3C: D1FF002B 02065DBC
	v_cndmask_b32_e64 v50, v43, v45, s[48:49]                  // 000000005F44: D1000032 00C25B2B
	v_cmp_u_f32_e64 s[48:49], v189, v189                       // 000000005F4C: D0480030 00037BBD
	v_add3_u32 v43, v189, v46, 1                               // 000000005F54: D1FF002B 02065DBD
	v_cndmask_b32_e64 v51, v43, v45, s[48:49]                  // 000000005F5C: D1000033 00C25B2B
	v_perm_b32 v178, v51, v50, s52                             // 000000005F64: D1ED00B2 00D26533
	v_cmp_u_f32_e64 s[48:49], v190, v190                       // 000000005F6C: D0480030 00037DBE
	v_add3_u32 v43, v190, v46, 1                               // 000000005F74: D1FF002B 02065DBE
	v_cndmask_b32_e64 v50, v43, v45, s[48:49]                  // 000000005F7C: D1000032 00C25B2B
	v_cmp_u_f32_e64 s[48:49], v191, v191                       // 000000005F84: D0480030 00037FBF
	v_add3_u32 v43, v191, v46, 1                               // 000000005F8C: D1FF002B 02065DBF
	v_cndmask_b32_e64 v51, v43, v45, s[48:49]                  // 000000005F94: D1000033 00C25B2B
	v_perm_b32 v179, v51, v50, s52                             // 000000005F9C: D1ED00B3 00D26533
	v_cmp_u_f32_e64 s[48:49], v192, v192                       // 000000005FA4: D0480030 000381C0
	v_add3_u32 v43, v192, v46, 1                               // 000000005FAC: D1FF002B 02065DC0
	v_cndmask_b32_e64 v50, v43, v45, s[48:49]                  // 000000005FB4: D1000032 00C25B2B
	v_cmp_u_f32_e64 s[48:49], v193, v193                       // 000000005FBC: D0480030 000383C1
	v_add3_u32 v43, v193, v46, 1                               // 000000005FC4: D1FF002B 02065DC1
	v_cndmask_b32_e64 v51, v43, v45, s[48:49]                  // 000000005FCC: D1000033 00C25B2B
	v_perm_b32 v180, v51, v50, s52                             // 000000005FD4: D1ED00B4 00D26533
	v_cmp_u_f32_e64 s[48:49], v194, v194                       // 000000005FDC: D0480030 000385C2
	v_add3_u32 v43, v194, v46, 1                               // 000000005FE4: D1FF002B 02065DC2
	v_cndmask_b32_e64 v50, v43, v45, s[48:49]                  // 000000005FEC: D1000032 00C25B2B
	v_cmp_u_f32_e64 s[48:49], v195, v195                       // 000000005FF4: D0480030 000387C3
	v_add3_u32 v43, v195, v46, 1                               // 000000005FFC: D1FF002B 02065DC3
	v_cndmask_b32_e64 v51, v43, v45, s[48:49]                  // 000000006004: D1000033 00C25B2B
	v_perm_b32 v181, v51, v50, s52                             // 00000000600C: D1ED00B5 00D26533
	v_cmp_u_f32_e64 s[48:49], v196, v196                       // 000000006014: D0480030 000389C4
	v_add3_u32 v43, v196, v46, 1                               // 00000000601C: D1FF002B 02065DC4
	v_cndmask_b32_e64 v50, v43, v45, s[48:49]                  // 000000006024: D1000032 00C25B2B
	v_cmp_u_f32_e64 s[48:49], v197, v197                       // 00000000602C: D0480030 00038BC5
	v_add3_u32 v43, v197, v46, 1                               // 000000006034: D1FF002B 02065DC5
	v_cndmask_b32_e64 v51, v43, v45, s[48:49]                  // 00000000603C: D1000033 00C25B2B
	v_perm_b32 v182, v51, v50, s52                             // 000000006044: D1ED00B6 00D26533
	v_cmp_u_f32_e64 s[48:49], v198, v198                       // 00000000604C: D0480030 00038DC6
	v_add3_u32 v43, v198, v46, 1                               // 000000006054: D1FF002B 02065DC6
	v_cndmask_b32_e64 v50, v43, v45, s[48:49]                  // 00000000605C: D1000032 00C25B2B
	v_cmp_u_f32_e64 s[48:49], v199, v199                       // 000000006064: D0480030 00038FC7
	v_add3_u32 v43, v199, v46, 1                               // 00000000606C: D1FF002B 02065DC7
	v_cndmask_b32_e64 v51, v43, v45, s[48:49]                  // 000000006074: D1000033 00C25B2B
	v_perm_b32 v183, v51, v50, s52                             // 00000000607C: D1ED00B7 00D26533
	ds_write_b64 v3, v[168:169] offset:28928                   // 000000006084: D89A7100 0000A803
	ds_write_b64 v3, v[170:171] offset:37632                   // 00000000608C: D89A9300 0000AA03
	ds_write_b64 v3, v[172:173] offset:31104                   // 000000006094: D89A7980 0000AC03
	ds_write_b64 v3, v[174:175] offset:39808                   // 00000000609C: D89A9B80 0000AE03
	ds_write_b64 v3, v[176:177] offset:33280                   // 0000000060A4: D89A8200 0000B003
	ds_write_b64 v3, v[178:179] offset:41984                   // 0000000060AC: D89AA400 0000B203
	ds_write_b64 v3, v[180:181] offset:35456                   // 0000000060B4: D89A8A80 0000B403
	ds_write_b64 v3, v[182:183] offset:44160                   // 0000000060BC: D89AAC80 0000B603
	s_waitcnt lgkmcnt(0)                                       // 0000000060C4: BF8CC07F
	s_barrier                                                  // 0000000060C8: BF8A0000
	ds_read_b32 v64, v4 offset:28928                           // 0000000060CC: D86C7100 40000004
	ds_read_b32 v65, v4 offset:33280                           // 0000000060D4: D86C8200 41000004
	ds_read_b32 v66, v4 offset:28960                           // 0000000060DC: D86C7120 42000004
	ds_read_b32 v67, v4 offset:33312                           // 0000000060E4: D86C8220 43000004
	ds_read_b32 v68, v4 offset:28992                           // 0000000060EC: D86C7140 44000004
	ds_read_b32 v69, v4 offset:33344                           // 0000000060F4: D86C8240 45000004
	ds_read_b32 v70, v4 offset:29024                           // 0000000060FC: D86C7160 46000004
	ds_read_b32 v71, v4 offset:33376                           // 000000006104: D86C8260 47000004
	ds_read_b32 v72, v4 offset:37632                           // 00000000610C: D86C9300 48000004
	ds_read_b32 v73, v4 offset:41984                           // 000000006114: D86CA400 49000004
	ds_read_b32 v74, v4 offset:37664                           // 00000000611C: D86C9320 4A000004
	ds_read_b32 v75, v4 offset:42016                           // 000000006124: D86CA420 4B000004
	ds_read_b32 v76, v4 offset:37696                           // 00000000612C: D86C9340 4C000004
	ds_read_b32 v77, v4 offset:42048                           // 000000006134: D86CA440 4D000004
	ds_read_b32 v78, v4 offset:37728                           // 00000000613C: D86C9360 4E000004
	ds_read_b32 v79, v4 offset:42080                           // 000000006144: D86CA460 4F000004
	s_waitcnt lgkmcnt(0)                                       // 00000000614C: BF8CC07F
	s_mov_b64 exec, s[20:21]                                   // 000000006150: BEFE0114
	global_atomic_pk_add_bf16 v80, v64, s[8:9]                 // 000000006154: DD488000 00084050
	s_mov_b64 exec, s[36:37]                                   // 00000000615C: BEFE0124
	s_mov_b64 exec, s[20:21]                                   // 000000006160: BEFE0114
	global_atomic_pk_add_bf16 v80, v65, s[8:9] offset:256      // 000000006164: DD488100 00084150
	s_mov_b64 exec, s[36:37]                                   // 00000000616C: BEFE0124
	s_mov_b64 exec, s[22:23]                                   // 000000006170: BEFE0116
	global_atomic_pk_add_bf16 v82, v66, s[8:9]                 // 000000006174: DD488000 00084252
	s_mov_b64 exec, s[36:37]                                   // 00000000617C: BEFE0124
	s_mov_b64 exec, s[22:23]                                   // 000000006180: BEFE0116
	global_atomic_pk_add_bf16 v82, v67, s[8:9] offset:256      // 000000006184: DD488100 00084352
	s_mov_b64 exec, s[36:37]                                   // 00000000618C: BEFE0124
	s_mov_b64 exec, s[24:25]                                   // 000000006190: BEFE0118
	global_atomic_pk_add_bf16 v84, v68, s[8:9]                 // 000000006194: DD488000 00084454
	s_mov_b64 exec, s[36:37]                                   // 00000000619C: BEFE0124
	s_mov_b64 exec, s[24:25]                                   // 0000000061A0: BEFE0118
	global_atomic_pk_add_bf16 v84, v69, s[8:9] offset:256      // 0000000061A4: DD488100 00084554
	s_mov_b64 exec, s[36:37]                                   // 0000000061AC: BEFE0124
	s_mov_b64 exec, s[26:27]                                   // 0000000061B0: BEFE011A
	global_atomic_pk_add_bf16 v86, v70, s[8:9]                 // 0000000061B4: DD488000 00084656
	s_mov_b64 exec, s[36:37]                                   // 0000000061BC: BEFE0124
	s_mov_b64 exec, s[26:27]                                   // 0000000061C0: BEFE011A
	global_atomic_pk_add_bf16 v86, v71, s[8:9] offset:256      // 0000000061C4: DD488100 00084756
	s_mov_b64 exec, s[36:37]                                   // 0000000061CC: BEFE0124
	s_mov_b64 exec, s[28:29]                                   // 0000000061D0: BEFE011C
	global_atomic_pk_add_bf16 v88, v72, s[8:9]                 // 0000000061D4: DD488000 00084858
	s_mov_b64 exec, s[36:37]                                   // 0000000061DC: BEFE0124
	s_mov_b64 exec, s[28:29]                                   // 0000000061E0: BEFE011C
	global_atomic_pk_add_bf16 v88, v73, s[8:9] offset:256      // 0000000061E4: DD488100 00084958
	s_mov_b64 exec, s[36:37]                                   // 0000000061EC: BEFE0124
	s_mov_b64 exec, s[30:31]                                   // 0000000061F0: BEFE011E
	global_atomic_pk_add_bf16 v90, v74, s[8:9]                 // 0000000061F4: DD488000 00084A5A
	s_mov_b64 exec, s[36:37]                                   // 0000000061FC: BEFE0124
	s_mov_b64 exec, s[30:31]                                   // 000000006200: BEFE011E
	global_atomic_pk_add_bf16 v90, v75, s[8:9] offset:256      // 000000006204: DD488100 00084B5A
	s_mov_b64 exec, s[36:37]                                   // 00000000620C: BEFE0124
	s_mov_b64 exec, s[32:33]                                   // 000000006210: BEFE0120
	global_atomic_pk_add_bf16 v92, v76, s[8:9]                 // 000000006214: DD488000 00084C5C
	s_mov_b64 exec, s[36:37]                                   // 00000000621C: BEFE0124
	s_mov_b64 exec, s[32:33]                                   // 000000006220: BEFE0120
	global_atomic_pk_add_bf16 v92, v77, s[8:9] offset:256      // 000000006224: DD488100 00084D5C
	s_mov_b64 exec, s[36:37]                                   // 00000000622C: BEFE0124
	s_mov_b64 exec, s[34:35]                                   // 000000006230: BEFE0122
	global_atomic_pk_add_bf16 v94, v78, s[8:9]                 // 000000006234: DD488000 00084E5E
	s_mov_b64 exec, s[36:37]                                   // 00000000623C: BEFE0124
	s_mov_b64 exec, s[34:35]                                   // 000000006240: BEFE0122
	global_atomic_pk_add_bf16 v94, v79, s[8:9] offset:256      // 000000006244: DD488100 00084F5E
	s_mov_b64 exec, s[36:37]                                   // 00000000624C: BEFE0124
	s_add_u32 s8, s59, s8                                      // 000000006250: 8008083B
	s_addc_u32 s9, 0, s9                                       // 000000006254: 82090980
	s_addk_i32 s80, 0x100                                      // 000000006258: B7500100
	s_cmp_lt_i32 s80, s81                                      // 00000000625C: BF045150
	s_cbranch_scc0 label_10B4                                  // 000000006260: BF8402DB
	s_waitcnt vmcnt(33)                                        // 000000006264: BF8C8F71
	s_barrier                                                  // 000000006268: BF8A0000
	v_mfma_i32_16x16x32_i8 v[200:203], a[80:81], v[128:129], 0 // 00000000626C: D3D700C8 0A030150
	v_mfma_i32_16x16x32_i8 v[200:203], a[82:83], v[130:131], v[200:203]// 000000006274: D3D700C8 0F230552
	buffer_load_dwordx4 a[0:3], v39, s[12:15], 0 offen         // 00000000627C: E05C1000 80830027
	v_mfma_i32_16x16x32_i8 v[204:207], a[80:81], v[148:149], 0 // 000000006284: D3D700CC 0A032950
	v_mfma_i32_16x16x32_i8 v[204:207], a[82:83], v[150:151], v[204:207]// 00000000628C: D3D700CC 0F332D52
	v_mfma_i32_16x16x32_i8 v[208:211], a[84:85], v[128:129], 0 // 000000006294: D3D700D0 0A030154
	v_mfma_i32_16x16x32_i8 v[208:211], a[86:87], v[130:131], v[208:211]// 00000000629C: D3D700D0 0F430556
	buffer_load_dwordx4 a[4:7], v40, s[12:15], 0 offen         // 0000000062A4: E05C1000 80830428
	v_mfma_i32_16x16x32_i8 v[212:215], a[84:85], v[148:149], 0 // 0000000062AC: D3D700D4 0A032954
	v_mfma_i32_16x16x32_i8 v[212:215], a[86:87], v[150:151], v[212:215]// 0000000062B4: D3D700D4 0F532D56
	v_mfma_i32_16x16x32_i8 v[216:219], a[88:89], v[128:129], 0 // 0000000062BC: D3D700D8 0A030158
	v_mfma_i32_16x16x32_i8 v[216:219], a[90:91], v[130:131], v[216:219]// 0000000062C4: D3D700D8 0F63055A
	buffer_load_dwordx4 a[8:11], v41, s[12:15], 0 offen        // 0000000062CC: E05C1000 80830829
	v_mfma_i32_16x16x32_i8 v[220:223], a[88:89], v[148:149], 0 // 0000000062D4: D3D700DC 0A032958
	v_mfma_i32_16x16x32_i8 v[220:223], a[90:91], v[150:151], v[220:223]// 0000000062DC: D3D700DC 0F732D5A
	v_mfma_i32_16x16x32_i8 v[224:227], a[92:93], v[128:129], 0 // 0000000062E4: D3D700E0 0A03015C
	v_mfma_i32_16x16x32_i8 v[224:227], a[94:95], v[130:131], v[224:227]// 0000000062EC: D3D700E0 0F83055E
	buffer_load_dwordx4 a[12:15], v42, s[12:15], 0 offen       // 0000000062F4: E05C1000 80830C2A
	s_add_u32 s12, s78, s12                                    // 0000000062FC: 800C0C4E
	s_addc_u32 s13, 0, s13                                     // 000000006300: 820D0D80
	v_mfma_i32_16x16x32_i8 v[228:231], a[92:93], v[148:149], 0 // 000000006304: D3D700E4 0A03295C
	v_mfma_i32_16x16x32_i8 v[228:231], a[94:95], v[150:151], v[228:231]// 00000000630C: D3D700E4 0F932D5E
	s_waitcnt vmcnt(33)                                        // 000000006314: BF8C8F71
	v_mfma_i32_16x16x32_i8 v[200:203], a[96:97], v[132:133], v[200:203]// 000000006318: D3D700C8 0F230960
	v_mfma_i32_16x16x32_i8 v[200:203], a[98:99], v[134:135], v[200:203]// 000000006320: D3D700C8 0F230D62
	buffer_load_dwordx4 a[16:19], v39, s[12:15], 0 offen       // 000000006328: E05C1000 80831027
	v_mfma_i32_16x16x32_i8 v[204:207], a[96:97], v[152:153], v[204:207]// 000000006330: D3D700CC 0F333160
	v_mfma_i32_16x16x32_i8 v[204:207], a[98:99], v[154:155], v[204:207]// 000000006338: D3D700CC 0F333562
	v_mfma_i32_16x16x32_i8 v[208:211], a[100:101], v[132:133], v[208:211]// 000000006340: D3D700D0 0F430964
	v_mfma_i32_16x16x32_i8 v[208:211], a[102:103], v[134:135], v[208:211]// 000000006348: D3D700D0 0F430D66
	buffer_load_dwordx4 a[20:23], v40, s[12:15], 0 offen       // 000000006350: E05C1000 80831428
	v_mfma_i32_16x16x32_i8 v[212:215], a[100:101], v[152:153], v[212:215]// 000000006358: D3D700D4 0F533164
	v_mfma_i32_16x16x32_i8 v[212:215], a[102:103], v[154:155], v[212:215]// 000000006360: D3D700D4 0F533566
	v_mfma_i32_16x16x32_i8 v[216:219], a[104:105], v[132:133], v[216:219]// 000000006368: D3D700D8 0F630968
	v_mfma_i32_16x16x32_i8 v[216:219], a[106:107], v[134:135], v[216:219]// 000000006370: D3D700D8 0F630D6A
	buffer_load_dwordx4 a[24:27], v41, s[12:15], 0 offen       // 000000006378: E05C1000 80831829
	v_mfma_i32_16x16x32_i8 v[220:223], a[104:105], v[152:153], v[220:223]// 000000006380: D3D700DC 0F733168
	v_mfma_i32_16x16x32_i8 v[220:223], a[106:107], v[154:155], v[220:223]// 000000006388: D3D700DC 0F73356A
	v_mfma_i32_16x16x32_i8 v[224:227], a[108:109], v[132:133], v[224:227]// 000000006390: D3D700E0 0F83096C
	v_mfma_i32_16x16x32_i8 v[224:227], a[110:111], v[134:135], v[224:227]// 000000006398: D3D700E0 0F830D6E
	buffer_load_dwordx4 a[28:31], v42, s[12:15], 0 offen       // 0000000063A0: E05C1000 80831C2A
	s_add_u32 s12, s78, s12                                    // 0000000063A8: 800C0C4E
	s_addc_u32 s13, 0, s13                                     // 0000000063AC: 820D0D80
	v_mfma_i32_16x16x32_i8 v[228:231], a[108:109], v[152:153], v[228:231]// 0000000063B0: D3D700E4 0F93316C
	v_mfma_i32_16x16x32_i8 v[228:231], a[110:111], v[154:155], v[228:231]// 0000000063B8: D3D700E4 0F93356E
	s_waitcnt vmcnt(33)                                        // 0000000063C0: BF8C8F71
	v_mfma_i32_16x16x32_i8 v[200:203], a[112:113], v[136:137], v[200:203]// 0000000063C4: D3D700C8 0F231170
	v_mfma_i32_16x16x32_i8 v[200:203], a[114:115], v[138:139], v[200:203]// 0000000063CC: D3D700C8 0F231572
	buffer_load_dwordx4 a[32:35], v39, s[12:15], 0 offen       // 0000000063D4: E05C1000 80832027
	v_mfma_i32_16x16x32_i8 v[204:207], a[112:113], v[156:157], v[204:207]// 0000000063DC: D3D700CC 0F333970
	v_mfma_i32_16x16x32_i8 v[204:207], a[114:115], v[158:159], v[204:207]// 0000000063E4: D3D700CC 0F333D72
	v_mfma_i32_16x16x32_i8 v[208:211], a[116:117], v[136:137], v[208:211]// 0000000063EC: D3D700D0 0F431174
	v_mfma_i32_16x16x32_i8 v[208:211], a[118:119], v[138:139], v[208:211]// 0000000063F4: D3D700D0 0F431576
	buffer_load_dwordx4 a[36:39], v40, s[12:15], 0 offen       // 0000000063FC: E05C1000 80832428
	v_mfma_i32_16x16x32_i8 v[212:215], a[116:117], v[156:157], v[212:215]// 000000006404: D3D700D4 0F533974
	v_mfma_i32_16x16x32_i8 v[212:215], a[118:119], v[158:159], v[212:215]// 00000000640C: D3D700D4 0F533D76
	v_mfma_i32_16x16x32_i8 v[216:219], a[120:121], v[136:137], v[216:219]// 000000006414: D3D700D8 0F631178
	v_mfma_i32_16x16x32_i8 v[216:219], a[122:123], v[138:139], v[216:219]// 00000000641C: D3D700D8 0F63157A
	buffer_load_dwordx4 a[40:43], v41, s[12:15], 0 offen       // 000000006424: E05C1000 80832829
	v_mfma_i32_16x16x32_i8 v[220:223], a[120:121], v[156:157], v[220:223]// 00000000642C: D3D700DC 0F733978
	v_mfma_i32_16x16x32_i8 v[220:223], a[122:123], v[158:159], v[220:223]// 000000006434: D3D700DC 0F733D7A
	v_mfma_i32_16x16x32_i8 v[224:227], a[124:125], v[136:137], v[224:227]// 00000000643C: D3D700E0 0F83117C
	v_mfma_i32_16x16x32_i8 v[224:227], a[126:127], v[138:139], v[224:227]// 000000006444: D3D700E0 0F83157E
	buffer_load_dwordx4 a[44:47], v42, s[12:15], 0 offen       // 00000000644C: E05C1000 80832C2A
	s_add_u32 s12, s78, s12                                    // 000000006454: 800C0C4E
	s_addc_u32 s13, 0, s13                                     // 000000006458: 820D0D80
	v_mfma_i32_16x16x32_i8 v[228:231], a[124:125], v[156:157], v[228:231]// 00000000645C: D3D700E4 0F93397C
	v_mfma_i32_16x16x32_i8 v[228:231], a[126:127], v[158:159], v[228:231]// 000000006464: D3D700E4 0F933D7E
	s_waitcnt vmcnt(33)                                        // 00000000646C: BF8C8F71
	v_mfma_i32_16x16x32_i8 v[200:203], a[128:129], v[140:141], v[200:203]// 000000006470: D3D700C8 0F231980
	v_mfma_i32_16x16x32_i8 v[200:203], a[130:131], v[142:143], v[200:203]// 000000006478: D3D700C8 0F231D82
	buffer_load_dwordx4 a[48:51], v39, s[12:15], 0 offen       // 000000006480: E05C1000 80833027
	v_mfma_i32_16x16x32_i8 v[204:207], a[128:129], v[160:161], v[204:207]// 000000006488: D3D700CC 0F334180
	v_mfma_i32_16x16x32_i8 v[204:207], a[130:131], v[162:163], v[204:207]// 000000006490: D3D700CC 0F334582
	v_mfma_i32_16x16x32_i8 v[208:211], a[132:133], v[140:141], v[208:211]// 000000006498: D3D700D0 0F431984
	v_mfma_i32_16x16x32_i8 v[208:211], a[134:135], v[142:143], v[208:211]// 0000000064A0: D3D700D0 0F431D86
	buffer_load_dwordx4 a[52:55], v40, s[12:15], 0 offen       // 0000000064A8: E05C1000 80833428
	v_mfma_i32_16x16x32_i8 v[212:215], a[132:133], v[160:161], v[212:215]// 0000000064B0: D3D700D4 0F534184
	v_mfma_i32_16x16x32_i8 v[212:215], a[134:135], v[162:163], v[212:215]// 0000000064B8: D3D700D4 0F534586
	v_mfma_i32_16x16x32_i8 v[216:219], a[136:137], v[140:141], v[216:219]// 0000000064C0: D3D700D8 0F631988
	v_mfma_i32_16x16x32_i8 v[216:219], a[138:139], v[142:143], v[216:219]// 0000000064C8: D3D700D8 0F631D8A
	buffer_load_dwordx4 a[56:59], v41, s[12:15], 0 offen       // 0000000064D0: E05C1000 80833829
	v_mfma_i32_16x16x32_i8 v[220:223], a[136:137], v[160:161], v[220:223]// 0000000064D8: D3D700DC 0F734188
	v_mfma_i32_16x16x32_i8 v[220:223], a[138:139], v[162:163], v[220:223]// 0000000064E0: D3D700DC 0F73458A
	v_mfma_i32_16x16x32_i8 v[224:227], a[140:141], v[140:141], v[224:227]// 0000000064E8: D3D700E0 0F83198C
	v_mfma_i32_16x16x32_i8 v[224:227], a[142:143], v[142:143], v[224:227]// 0000000064F0: D3D700E0 0F831D8E
	buffer_load_dwordx4 a[60:63], v42, s[12:15], 0 offen       // 0000000064F8: E05C1000 80833C2A
	s_add_u32 s12, s78, s12                                    // 000000006500: 800C0C4E
	s_addc_u32 s13, 0, s13                                     // 000000006504: 820D0D80
	v_mfma_i32_16x16x32_i8 v[228:231], a[140:141], v[160:161], v[228:231]// 000000006508: D3D700E4 0F93418C
	v_mfma_i32_16x16x32_i8 v[228:231], a[142:143], v[162:163], v[228:231]// 000000006510: D3D700E4 0F93458E
	s_waitcnt vmcnt(32)                                        // 000000006518: BF8C8F70
	v_mfma_i32_16x16x32_i8 v[200:203], a[144:145], v[144:145], v[200:203]// 00000000651C: D3D700C8 0F232190
	v_mfma_i32_16x16x32_i8 v[200:203], a[146:147], v[146:147], v[200:203]// 000000006524: D3D700C8 0F232592
	buffer_load_dwordx4 a[64:67], v39, s[12:15], 0 offen       // 00000000652C: E05C1000 80834027
	v_mfma_i32_16x16x32_i8 v[204:207], a[144:145], v[164:165], v[204:207]// 000000006534: D3D700CC 0F334990
	v_mfma_i32_16x16x32_i8 v[204:207], a[146:147], v[166:167], v[204:207]// 00000000653C: D3D700CC 0F334D92
	buffer_load_dword v12, v5, s[16:19], 0 offen               // 000000006544: E0501000 80040C05
	v_mfma_i32_16x16x32_i8 v[208:211], a[148:149], v[144:145], v[208:211]// 00000000654C: D3D700D0 0F432194
	v_mfma_i32_16x16x32_i8 v[208:211], a[150:151], v[146:147], v[208:211]// 000000006554: D3D700D0 0F432596
	buffer_load_dwordx4 a[68:71], v40, s[12:15], 0 offen       // 00000000655C: E05C1000 80834428
	v_mfma_i32_16x16x32_i8 v[212:215], a[148:149], v[164:165], v[212:215]// 000000006564: D3D700D4 0F534994
	v_mfma_i32_16x16x32_i8 v[212:215], a[150:151], v[166:167], v[212:215]// 00000000656C: D3D700D4 0F534D96
	v_mfma_i32_16x16x32_i8 v[216:219], a[152:153], v[144:145], v[216:219]// 000000006574: D3D700D8 0F632198
	v_mfma_i32_16x16x32_i8 v[216:219], a[154:155], v[146:147], v[216:219]// 00000000657C: D3D700D8 0F63259A
	buffer_load_dwordx4 a[72:75], v41, s[12:15], 0 offen       // 000000006584: E05C1000 80834829
	v_mfma_i32_16x16x32_i8 v[220:223], a[152:153], v[164:165], v[220:223]// 00000000658C: D3D700DC 0F734998
	v_mfma_i32_16x16x32_i8 v[220:223], a[154:155], v[166:167], v[220:223]// 000000006594: D3D700DC 0F734D9A
	v_mfma_i32_16x16x32_i8 v[224:227], a[156:157], v[144:145], v[224:227]// 00000000659C: D3D700E0 0F83219C
	v_mfma_i32_16x16x32_i8 v[224:227], a[158:159], v[146:147], v[224:227]// 0000000065A4: D3D700E0 0F83259E
	buffer_load_dwordx4 a[76:79], v42, s[12:15], 0 offen       // 0000000065AC: E05C1000 80834C2A
	v_mfma_i32_16x16x32_i8 v[228:231], a[156:157], v[164:165], v[228:231]// 0000000065B4: D3D700E4 0F93499C
	v_mfma_i32_16x16x32_i8 v[228:231], a[158:159], v[166:167], v[228:231]// 0000000065BC: D3D700E4 0F934D9E
	s_add_u32 s60, 0x200, s80                                  // 0000000065C4: 803C50FF 00000200
	s_cmp_lt_u32 s60, s81                                      // 0000000065CC: BF0A513C
	s_cselect_b32 s56, s56, 0                                  // 0000000065D0: 85388038
	s_cselect_b32 s78, s78, 0                                  // 0000000065D4: 854E804E
	s_cselect_b32 s79, s79, 0                                  // 0000000065D8: 854F804F
	s_add_u32 s12, s56, s12                                    // 0000000065DC: 800C0C38
	s_addc_u32 s13, 0, s13                                     // 0000000065E0: 820D0D80
	s_add_u32 s16, s79, s16                                    // 0000000065E4: 8010104F
	s_addc_u32 s17, 0, s17                                     // 0000000065E8: 82111180
	v_cvt_f32_i32_e32 v200, v200                               // 0000000065EC: 7F900BC8
	v_cvt_f32_i32_e32 v201, v201                               // 0000000065F0: 7F920BC9
	v_cvt_f32_i32_e32 v202, v202                               // 0000000065F4: 7F940BCA
	v_cvt_f32_i32_e32 v203, v203                               // 0000000065F8: 7F960BCB
	v_mul_f32_e32 v200, v24, v200                              // 0000000065FC: 0B919118
	v_mul_f32_e32 v201, v24, v201                              // 000000006600: 0B939318
	v_mul_f32_e32 v202, v24, v202                              // 000000006604: 0B959518
	v_mul_f32_e32 v203, v24, v203                              // 000000006608: 0B979718
	v_mul_f32_dpp v200, v13, v200 row_newbcast:0 row_mask:0xf bank_mask:0xf// 00000000660C: 0B9190FA FF01500D
	v_mul_f32_dpp v201, v13, v201 row_newbcast:1 row_mask:0xf bank_mask:0xf// 000000006614: 0B9392FA FF01510D
	v_mul_f32_dpp v202, v13, v202 row_newbcast:2 row_mask:0xf bank_mask:0xf// 00000000661C: 0B9594FA FF01520D
	v_mul_f32_dpp v203, v13, v203 row_newbcast:3 row_mask:0xf bank_mask:0xf// 000000006624: 0B9796FA FF01530D
	v_mul_f32_e32 v200, v20, v200                              // 00000000662C: 0B919114
	v_mul_f32_e32 v201, v20, v201                              // 000000006630: 0B939314
	v_mul_f32_e32 v202, v20, v202                              // 000000006634: 0B959514
	v_mul_f32_e32 v203, v20, v203                              // 000000006638: 0B979714
	v_cvt_f32_i32_e32 v204, v204                               // 00000000663C: 7F980BCC
	v_cvt_f32_i32_e32 v205, v205                               // 000000006640: 7F9A0BCD
	v_cvt_f32_i32_e32 v206, v206                               // 000000006644: 7F9C0BCE
	v_cvt_f32_i32_e32 v207, v207                               // 000000006648: 7F9E0BCF
	v_mul_f32_e32 v204, v25, v204                              // 00000000664C: 0B999919
	v_mul_f32_e32 v205, v25, v205                              // 000000006650: 0B9B9B19
	v_mul_f32_e32 v206, v25, v206                              // 000000006654: 0B9D9D19
	v_mul_f32_e32 v207, v25, v207                              // 000000006658: 0B9F9F19
	v_mul_f32_dpp v204, v13, v204 row_newbcast:0 row_mask:0xf bank_mask:0xf// 00000000665C: 0B9998FA FF01500D
	v_mul_f32_dpp v205, v13, v205 row_newbcast:1 row_mask:0xf bank_mask:0xf// 000000006664: 0B9B9AFA FF01510D
	v_mul_f32_dpp v206, v13, v206 row_newbcast:2 row_mask:0xf bank_mask:0xf// 00000000666C: 0B9D9CFA FF01520D
	v_mul_f32_dpp v207, v13, v207 row_newbcast:3 row_mask:0xf bank_mask:0xf// 000000006674: 0B9F9EFA FF01530D
	v_mul_f32_e32 v204, v21, v204                              // 00000000667C: 0B999915
	v_mul_f32_e32 v205, v21, v205                              // 000000006680: 0B9B9B15
	v_mul_f32_e32 v206, v21, v206                              // 000000006684: 0B9D9D15
	v_mul_f32_e32 v207, v21, v207                              // 000000006688: 0B9F9F15
	v_cvt_f32_i32_e32 v208, v208                               // 00000000668C: 7FA00BD0
	v_cvt_f32_i32_e32 v209, v209                               // 000000006690: 7FA20BD1
	v_cvt_f32_i32_e32 v210, v210                               // 000000006694: 7FA40BD2
	v_cvt_f32_i32_e32 v211, v211                               // 000000006698: 7FA60BD3
	v_mul_f32_e32 v208, v24, v208                              // 00000000669C: 0BA1A118
	v_mul_f32_e32 v209, v24, v209                              // 0000000066A0: 0BA3A318
	v_mul_f32_e32 v210, v24, v210                              // 0000000066A4: 0BA5A518
	v_mul_f32_e32 v211, v24, v211                              // 0000000066A8: 0BA7A718
	v_mul_f32_dpp v208, v13, v208 row_newbcast:4 row_mask:0xf bank_mask:0xf// 0000000066AC: 0BA1A0FA FF01540D
	v_mul_f32_dpp v209, v13, v209 row_newbcast:5 row_mask:0xf bank_mask:0xf// 0000000066B4: 0BA3A2FA FF01550D
	v_mul_f32_dpp v210, v13, v210 row_newbcast:6 row_mask:0xf bank_mask:0xf// 0000000066BC: 0BA5A4FA FF01560D
	v_mul_f32_dpp v211, v13, v211 row_newbcast:7 row_mask:0xf bank_mask:0xf// 0000000066C4: 0BA7A6FA FF01570D
	v_mul_f32_e32 v208, v20, v208                              // 0000000066CC: 0BA1A114
	v_mul_f32_e32 v209, v20, v209                              // 0000000066D0: 0BA3A314
	v_mul_f32_e32 v210, v20, v210                              // 0000000066D4: 0BA5A514
	v_mul_f32_e32 v211, v20, v211                              // 0000000066D8: 0BA7A714
	v_cvt_f32_i32_e32 v212, v212                               // 0000000066DC: 7FA80BD4
	v_cvt_f32_i32_e32 v213, v213                               // 0000000066E0: 7FAA0BD5
	v_cvt_f32_i32_e32 v214, v214                               // 0000000066E4: 7FAC0BD6
	v_cvt_f32_i32_e32 v215, v215                               // 0000000066E8: 7FAE0BD7
	v_mul_f32_e32 v212, v25, v212                              // 0000000066EC: 0BA9A919
	v_mul_f32_e32 v213, v25, v213                              // 0000000066F0: 0BABAB19
	v_mul_f32_e32 v214, v25, v214                              // 0000000066F4: 0BADAD19
	v_mul_f32_e32 v215, v25, v215                              // 0000000066F8: 0BAFAF19
	v_mul_f32_dpp v212, v13, v212 row_newbcast:4 row_mask:0xf bank_mask:0xf// 0000000066FC: 0BA9A8FA FF01540D
	v_mul_f32_dpp v213, v13, v213 row_newbcast:5 row_mask:0xf bank_mask:0xf// 000000006704: 0BABAAFA FF01550D
	v_mul_f32_dpp v214, v13, v214 row_newbcast:6 row_mask:0xf bank_mask:0xf// 00000000670C: 0BADACFA FF01560D
	v_mul_f32_dpp v215, v13, v215 row_newbcast:7 row_mask:0xf bank_mask:0xf// 000000006714: 0BAFAEFA FF01570D
	v_mul_f32_e32 v212, v21, v212                              // 00000000671C: 0BA9A915
	v_mul_f32_e32 v213, v21, v213                              // 000000006720: 0BABAB15
	v_mul_f32_e32 v214, v21, v214                              // 000000006724: 0BADAD15
	v_mul_f32_e32 v215, v21, v215                              // 000000006728: 0BAFAF15
	v_cvt_f32_i32_e32 v216, v216                               // 00000000672C: 7FB00BD8
	v_cvt_f32_i32_e32 v217, v217                               // 000000006730: 7FB20BD9
	v_cvt_f32_i32_e32 v218, v218                               // 000000006734: 7FB40BDA
	v_cvt_f32_i32_e32 v219, v219                               // 000000006738: 7FB60BDB
	v_mul_f32_e32 v216, v24, v216                              // 00000000673C: 0BB1B118
	v_mul_f32_e32 v217, v24, v217                              // 000000006740: 0BB3B318
	v_mul_f32_e32 v218, v24, v218                              // 000000006744: 0BB5B518
	v_mul_f32_e32 v219, v24, v219                              // 000000006748: 0BB7B718
	v_mul_f32_dpp v216, v13, v216 row_newbcast:8 row_mask:0xf bank_mask:0xf// 00000000674C: 0BB1B0FA FF01580D
	v_mul_f32_dpp v217, v13, v217 row_newbcast:9 row_mask:0xf bank_mask:0xf// 000000006754: 0BB3B2FA FF01590D
	v_mul_f32_dpp v218, v13, v218 row_newbcast:10 row_mask:0xf bank_mask:0xf// 00000000675C: 0BB5B4FA FF015A0D
	v_mul_f32_dpp v219, v13, v219 row_newbcast:11 row_mask:0xf bank_mask:0xf// 000000006764: 0BB7B6FA FF015B0D
	v_mul_f32_e32 v216, v20, v216                              // 00000000676C: 0BB1B114
	v_mul_f32_e32 v217, v20, v217                              // 000000006770: 0BB3B314
	v_mul_f32_e32 v218, v20, v218                              // 000000006774: 0BB5B514
	v_mul_f32_e32 v219, v20, v219                              // 000000006778: 0BB7B714
	v_cvt_f32_i32_e32 v220, v220                               // 00000000677C: 7FB80BDC
	v_cvt_f32_i32_e32 v221, v221                               // 000000006780: 7FBA0BDD
	v_cvt_f32_i32_e32 v222, v222                               // 000000006784: 7FBC0BDE
	v_cvt_f32_i32_e32 v223, v223                               // 000000006788: 7FBE0BDF
	v_mul_f32_e32 v220, v25, v220                              // 00000000678C: 0BB9B919
	v_mul_f32_e32 v221, v25, v221                              // 000000006790: 0BBBBB19
	v_mul_f32_e32 v222, v25, v222                              // 000000006794: 0BBDBD19
	v_mul_f32_e32 v223, v25, v223                              // 000000006798: 0BBFBF19
	v_mul_f32_dpp v220, v13, v220 row_newbcast:8 row_mask:0xf bank_mask:0xf// 00000000679C: 0BB9B8FA FF01580D
	v_mul_f32_dpp v221, v13, v221 row_newbcast:9 row_mask:0xf bank_mask:0xf// 0000000067A4: 0BBBBAFA FF01590D
	v_mul_f32_dpp v222, v13, v222 row_newbcast:10 row_mask:0xf bank_mask:0xf// 0000000067AC: 0BBDBCFA FF015A0D
	v_mul_f32_dpp v223, v13, v223 row_newbcast:11 row_mask:0xf bank_mask:0xf// 0000000067B4: 0BBFBEFA FF015B0D
	v_mul_f32_e32 v220, v21, v220                              // 0000000067BC: 0BB9B915
	v_mul_f32_e32 v221, v21, v221                              // 0000000067C0: 0BBBBB15
	v_mul_f32_e32 v222, v21, v222                              // 0000000067C4: 0BBDBD15
	v_mul_f32_e32 v223, v21, v223                              // 0000000067C8: 0BBFBF15
	v_cvt_f32_i32_e32 v224, v224                               // 0000000067CC: 7FC00BE0
	v_cvt_f32_i32_e32 v225, v225                               // 0000000067D0: 7FC20BE1
	v_cvt_f32_i32_e32 v226, v226                               // 0000000067D4: 7FC40BE2
	v_cvt_f32_i32_e32 v227, v227                               // 0000000067D8: 7FC60BE3
	v_mul_f32_e32 v224, v24, v224                              // 0000000067DC: 0BC1C118
	v_mul_f32_e32 v225, v24, v225                              // 0000000067E0: 0BC3C318
	v_mul_f32_e32 v226, v24, v226                              // 0000000067E4: 0BC5C518
	v_mul_f32_e32 v227, v24, v227                              // 0000000067E8: 0BC7C718
	v_mul_f32_dpp v224, v13, v224 row_newbcast:12 row_mask:0xf bank_mask:0xf// 0000000067EC: 0BC1C0FA FF015C0D
	v_mul_f32_dpp v225, v13, v225 row_newbcast:13 row_mask:0xf bank_mask:0xf// 0000000067F4: 0BC3C2FA FF015D0D
	v_mul_f32_dpp v226, v13, v226 row_newbcast:14 row_mask:0xf bank_mask:0xf// 0000000067FC: 0BC5C4FA FF015E0D
	v_mul_f32_dpp v227, v13, v227 row_newbcast:15 row_mask:0xf bank_mask:0xf// 000000006804: 0BC7C6FA FF015F0D
	v_mul_f32_e32 v224, v20, v224                              // 00000000680C: 0BC1C114
	v_mul_f32_e32 v225, v20, v225                              // 000000006810: 0BC3C314
	v_mul_f32_e32 v226, v20, v226                              // 000000006814: 0BC5C514
	v_mul_f32_e32 v227, v20, v227                              // 000000006818: 0BC7C714
	v_cvt_f32_i32_e32 v228, v228                               // 00000000681C: 7FC80BE4
	v_cvt_f32_i32_e32 v229, v229                               // 000000006820: 7FCA0BE5
	v_cvt_f32_i32_e32 v230, v230                               // 000000006824: 7FCC0BE6
	v_cvt_f32_i32_e32 v231, v231                               // 000000006828: 7FCE0BE7
	v_mul_f32_e32 v228, v25, v228                              // 00000000682C: 0BC9C919
	v_mul_f32_e32 v229, v25, v229                              // 000000006830: 0BCBCB19
	v_mul_f32_e32 v230, v25, v230                              // 000000006834: 0BCDCD19
	v_mul_f32_e32 v231, v25, v231                              // 000000006838: 0BCFCF19
	v_mul_f32_dpp v228, v13, v228 row_newbcast:12 row_mask:0xf bank_mask:0xf// 00000000683C: 0BC9C8FA FF015C0D
	v_mul_f32_dpp v229, v13, v229 row_newbcast:13 row_mask:0xf bank_mask:0xf// 000000006844: 0BCBCAFA FF015D0D
	v_mul_f32_dpp v230, v13, v230 row_newbcast:14 row_mask:0xf bank_mask:0xf// 00000000684C: 0BCDCCFA FF015E0D
	v_mul_f32_dpp v231, v13, v231 row_newbcast:15 row_mask:0xf bank_mask:0xf// 000000006854: 0BCFCEFA FF015F0D
	v_mul_f32_e32 v228, v21, v228                              // 00000000685C: 0BC9C915
	v_mul_f32_e32 v229, v21, v229                              // 000000006860: 0BCBCB15
	v_mul_f32_e32 v230, v21, v230                              // 000000006864: 0BCDCD15
	v_mul_f32_e32 v231, v21, v231                              // 000000006868: 0BCFCF15
	v_cmp_u_f32_e64 s[48:49], v200, v200                       // 00000000686C: D0480030 000391C8
	v_add3_u32 v43, v200, v46, 1                               // 000000006874: D1FF002B 02065DC8
	v_cndmask_b32_e64 v50, v43, v45, s[48:49]                  // 00000000687C: D1000032 00C25B2B
	v_cmp_u_f32_e64 s[48:49], v201, v201                       // 000000006884: D0480030 000393C9
	v_add3_u32 v43, v201, v46, 1                               // 00000000688C: D1FF002B 02065DC9
	v_cndmask_b32_e64 v51, v43, v45, s[48:49]                  // 000000006894: D1000033 00C25B2B
	v_perm_b32 v200, v51, v50, s52                             // 00000000689C: D1ED00C8 00D26533
	v_cmp_u_f32_e64 s[48:49], v202, v202                       // 0000000068A4: D0480030 000395CA
	v_add3_u32 v43, v202, v46, 1                               // 0000000068AC: D1FF002B 02065DCA
	v_cndmask_b32_e64 v50, v43, v45, s[48:49]                  // 0000000068B4: D1000032 00C25B2B
	v_cmp_u_f32_e64 s[48:49], v203, v203                       // 0000000068BC: D0480030 000397CB
	v_add3_u32 v43, v203, v46, 1                               // 0000000068C4: D1FF002B 02065DCB
	v_cndmask_b32_e64 v51, v43, v45, s[48:49]                  // 0000000068CC: D1000033 00C25B2B
	v_perm_b32 v201, v51, v50, s52                             // 0000000068D4: D1ED00C9 00D26533
	v_cmp_u_f32_e64 s[48:49], v204, v204                       // 0000000068DC: D0480030 000399CC
	v_add3_u32 v43, v204, v46, 1                               // 0000000068E4: D1FF002B 02065DCC
	v_cndmask_b32_e64 v50, v43, v45, s[48:49]                  // 0000000068EC: D1000032 00C25B2B
	v_cmp_u_f32_e64 s[48:49], v205, v205                       // 0000000068F4: D0480030 00039BCD
	v_add3_u32 v43, v205, v46, 1                               // 0000000068FC: D1FF002B 02065DCD
	v_cndmask_b32_e64 v51, v43, v45, s[48:49]                  // 000000006904: D1000033 00C25B2B
	v_perm_b32 v202, v51, v50, s52                             // 00000000690C: D1ED00CA 00D26533
	v_cmp_u_f32_e64 s[48:49], v206, v206                       // 000000006914: D0480030 00039DCE
	v_add3_u32 v43, v206, v46, 1                               // 00000000691C: D1FF002B 02065DCE
	v_cndmask_b32_e64 v50, v43, v45, s[48:49]                  // 000000006924: D1000032 00C25B2B
	v_cmp_u_f32_e64 s[48:49], v207, v207                       // 00000000692C: D0480030 00039FCF
	v_add3_u32 v43, v207, v46, 1                               // 000000006934: D1FF002B 02065DCF
	v_cndmask_b32_e64 v51, v43, v45, s[48:49]                  // 00000000693C: D1000033 00C25B2B
	v_perm_b32 v203, v51, v50, s52                             // 000000006944: D1ED00CB 00D26533
	v_cmp_u_f32_e64 s[48:49], v208, v208                       // 00000000694C: D0480030 0003A1D0
	v_add3_u32 v43, v208, v46, 1                               // 000000006954: D1FF002B 02065DD0
	v_cndmask_b32_e64 v50, v43, v45, s[48:49]                  // 00000000695C: D1000032 00C25B2B
	v_cmp_u_f32_e64 s[48:49], v209, v209                       // 000000006964: D0480030 0003A3D1
	v_add3_u32 v43, v209, v46, 1                               // 00000000696C: D1FF002B 02065DD1
	v_cndmask_b32_e64 v51, v43, v45, s[48:49]                  // 000000006974: D1000033 00C25B2B
	v_perm_b32 v204, v51, v50, s52                             // 00000000697C: D1ED00CC 00D26533
	v_cmp_u_f32_e64 s[48:49], v210, v210                       // 000000006984: D0480030 0003A5D2
	v_add3_u32 v43, v210, v46, 1                               // 00000000698C: D1FF002B 02065DD2
	v_cndmask_b32_e64 v50, v43, v45, s[48:49]                  // 000000006994: D1000032 00C25B2B
	v_cmp_u_f32_e64 s[48:49], v211, v211                       // 00000000699C: D0480030 0003A7D3
	v_add3_u32 v43, v211, v46, 1                               // 0000000069A4: D1FF002B 02065DD3
	v_cndmask_b32_e64 v51, v43, v45, s[48:49]                  // 0000000069AC: D1000033 00C25B2B
	v_perm_b32 v205, v51, v50, s52                             // 0000000069B4: D1ED00CD 00D26533
	v_cmp_u_f32_e64 s[48:49], v212, v212                       // 0000000069BC: D0480030 0003A9D4
	v_add3_u32 v43, v212, v46, 1                               // 0000000069C4: D1FF002B 02065DD4
	v_cndmask_b32_e64 v50, v43, v45, s[48:49]                  // 0000000069CC: D1000032 00C25B2B
	v_cmp_u_f32_e64 s[48:49], v213, v213                       // 0000000069D4: D0480030 0003ABD5
	v_add3_u32 v43, v213, v46, 1                               // 0000000069DC: D1FF002B 02065DD5
	v_cndmask_b32_e64 v51, v43, v45, s[48:49]                  // 0000000069E4: D1000033 00C25B2B
	v_perm_b32 v206, v51, v50, s52                             // 0000000069EC: D1ED00CE 00D26533
	v_cmp_u_f32_e64 s[48:49], v214, v214                       // 0000000069F4: D0480030 0003ADD6
	v_add3_u32 v43, v214, v46, 1                               // 0000000069FC: D1FF002B 02065DD6
	v_cndmask_b32_e64 v50, v43, v45, s[48:49]                  // 000000006A04: D1000032 00C25B2B
	v_cmp_u_f32_e64 s[48:49], v215, v215                       // 000000006A0C: D0480030 0003AFD7
	v_add3_u32 v43, v215, v46, 1                               // 000000006A14: D1FF002B 02065DD7
	v_cndmask_b32_e64 v51, v43, v45, s[48:49]                  // 000000006A1C: D1000033 00C25B2B
	v_perm_b32 v207, v51, v50, s52                             // 000000006A24: D1ED00CF 00D26533
	v_cmp_u_f32_e64 s[48:49], v216, v216                       // 000000006A2C: D0480030 0003B1D8
	v_add3_u32 v43, v216, v46, 1                               // 000000006A34: D1FF002B 02065DD8
	v_cndmask_b32_e64 v50, v43, v45, s[48:49]                  // 000000006A3C: D1000032 00C25B2B
	v_cmp_u_f32_e64 s[48:49], v217, v217                       // 000000006A44: D0480030 0003B3D9
	v_add3_u32 v43, v217, v46, 1                               // 000000006A4C: D1FF002B 02065DD9
	v_cndmask_b32_e64 v51, v43, v45, s[48:49]                  // 000000006A54: D1000033 00C25B2B
	v_perm_b32 v208, v51, v50, s52                             // 000000006A5C: D1ED00D0 00D26533
	v_cmp_u_f32_e64 s[48:49], v218, v218                       // 000000006A64: D0480030 0003B5DA
	v_add3_u32 v43, v218, v46, 1                               // 000000006A6C: D1FF002B 02065DDA
	v_cndmask_b32_e64 v50, v43, v45, s[48:49]                  // 000000006A74: D1000032 00C25B2B
	v_cmp_u_f32_e64 s[48:49], v219, v219                       // 000000006A7C: D0480030 0003B7DB
	v_add3_u32 v43, v219, v46, 1                               // 000000006A84: D1FF002B 02065DDB
	v_cndmask_b32_e64 v51, v43, v45, s[48:49]                  // 000000006A8C: D1000033 00C25B2B
	v_perm_b32 v209, v51, v50, s52                             // 000000006A94: D1ED00D1 00D26533
	v_cmp_u_f32_e64 s[48:49], v220, v220                       // 000000006A9C: D0480030 0003B9DC
	v_add3_u32 v43, v220, v46, 1                               // 000000006AA4: D1FF002B 02065DDC
	v_cndmask_b32_e64 v50, v43, v45, s[48:49]                  // 000000006AAC: D1000032 00C25B2B
	v_cmp_u_f32_e64 s[48:49], v221, v221                       // 000000006AB4: D0480030 0003BBDD
	v_add3_u32 v43, v221, v46, 1                               // 000000006ABC: D1FF002B 02065DDD
	v_cndmask_b32_e64 v51, v43, v45, s[48:49]                  // 000000006AC4: D1000033 00C25B2B
	v_perm_b32 v210, v51, v50, s52                             // 000000006ACC: D1ED00D2 00D26533
	v_cmp_u_f32_e64 s[48:49], v222, v222                       // 000000006AD4: D0480030 0003BDDE
	v_add3_u32 v43, v222, v46, 1                               // 000000006ADC: D1FF002B 02065DDE
	v_cndmask_b32_e64 v50, v43, v45, s[48:49]                  // 000000006AE4: D1000032 00C25B2B
	v_cmp_u_f32_e64 s[48:49], v223, v223                       // 000000006AEC: D0480030 0003BFDF
	v_add3_u32 v43, v223, v46, 1                               // 000000006AF4: D1FF002B 02065DDF
	v_cndmask_b32_e64 v51, v43, v45, s[48:49]                  // 000000006AFC: D1000033 00C25B2B
	v_perm_b32 v211, v51, v50, s52                             // 000000006B04: D1ED00D3 00D26533
	v_cmp_u_f32_e64 s[48:49], v224, v224                       // 000000006B0C: D0480030 0003C1E0
	v_add3_u32 v43, v224, v46, 1                               // 000000006B14: D1FF002B 02065DE0
	v_cndmask_b32_e64 v50, v43, v45, s[48:49]                  // 000000006B1C: D1000032 00C25B2B
	v_cmp_u_f32_e64 s[48:49], v225, v225                       // 000000006B24: D0480030 0003C3E1
	v_add3_u32 v43, v225, v46, 1                               // 000000006B2C: D1FF002B 02065DE1
	v_cndmask_b32_e64 v51, v43, v45, s[48:49]                  // 000000006B34: D1000033 00C25B2B
	v_perm_b32 v212, v51, v50, s52                             // 000000006B3C: D1ED00D4 00D26533
	v_cmp_u_f32_e64 s[48:49], v226, v226                       // 000000006B44: D0480030 0003C5E2
	v_add3_u32 v43, v226, v46, 1                               // 000000006B4C: D1FF002B 02065DE2
	v_cndmask_b32_e64 v50, v43, v45, s[48:49]                  // 000000006B54: D1000032 00C25B2B
	v_cmp_u_f32_e64 s[48:49], v227, v227                       // 000000006B5C: D0480030 0003C7E3
	v_add3_u32 v43, v227, v46, 1                               // 000000006B64: D1FF002B 02065DE3
	v_cndmask_b32_e64 v51, v43, v45, s[48:49]                  // 000000006B6C: D1000033 00C25B2B
	v_perm_b32 v213, v51, v50, s52                             // 000000006B74: D1ED00D5 00D26533
	v_cmp_u_f32_e64 s[48:49], v228, v228                       // 000000006B7C: D0480030 0003C9E4
	v_add3_u32 v43, v228, v46, 1                               // 000000006B84: D1FF002B 02065DE4
	v_cndmask_b32_e64 v50, v43, v45, s[48:49]                  // 000000006B8C: D1000032 00C25B2B
	v_cmp_u_f32_e64 s[48:49], v229, v229                       // 000000006B94: D0480030 0003CBE5
	v_add3_u32 v43, v229, v46, 1                               // 000000006B9C: D1FF002B 02065DE5
	v_cndmask_b32_e64 v51, v43, v45, s[48:49]                  // 000000006BA4: D1000033 00C25B2B
	v_perm_b32 v214, v51, v50, s52                             // 000000006BAC: D1ED00D6 00D26533
	v_cmp_u_f32_e64 s[48:49], v230, v230                       // 000000006BB4: D0480030 0003CDE6
	v_add3_u32 v43, v230, v46, 1                               // 000000006BBC: D1FF002B 02065DE6
	v_cndmask_b32_e64 v50, v43, v45, s[48:49]                  // 000000006BC4: D1000032 00C25B2B
	v_cmp_u_f32_e64 s[48:49], v231, v231                       // 000000006BCC: D0480030 0003CFE7
	v_add3_u32 v43, v231, v46, 1                               // 000000006BD4: D1FF002B 02065DE7
	v_cndmask_b32_e64 v51, v43, v45, s[48:49]                  // 000000006BDC: D1000033 00C25B2B
	v_perm_b32 v215, v51, v50, s52                             // 000000006BE4: D1ED00D7 00D26533
	ds_write_b64 v3, v[200:201] offset:28928                   // 000000006BEC: D89A7100 0000C803
	ds_write_b64 v3, v[202:203] offset:37632                   // 000000006BF4: D89A9300 0000CA03
	ds_write_b64 v3, v[204:205] offset:31104                   // 000000006BFC: D89A7980 0000CC03
	ds_write_b64 v3, v[206:207] offset:39808                   // 000000006C04: D89A9B80 0000CE03
	ds_write_b64 v3, v[208:209] offset:33280                   // 000000006C0C: D89A8200 0000D003
	ds_write_b64 v3, v[210:211] offset:41984                   // 000000006C14: D89AA400 0000D203
	ds_write_b64 v3, v[212:213] offset:35456                   // 000000006C1C: D89A8A80 0000D403
	ds_write_b64 v3, v[214:215] offset:44160                   // 000000006C24: D89AAC80 0000D603
	s_waitcnt lgkmcnt(0)                                       // 000000006C2C: BF8CC07F
	s_barrier                                                  // 000000006C30: BF8A0000
	ds_read_b32 v64, v4 offset:28928                           // 000000006C34: D86C7100 40000004
	ds_read_b32 v65, v4 offset:33280                           // 000000006C3C: D86C8200 41000004
	ds_read_b32 v66, v4 offset:28960                           // 000000006C44: D86C7120 42000004
	ds_read_b32 v67, v4 offset:33312                           // 000000006C4C: D86C8220 43000004
	ds_read_b32 v68, v4 offset:28992                           // 000000006C54: D86C7140 44000004
	ds_read_b32 v69, v4 offset:33344                           // 000000006C5C: D86C8240 45000004
	ds_read_b32 v70, v4 offset:29024                           // 000000006C64: D86C7160 46000004
	ds_read_b32 v71, v4 offset:33376                           // 000000006C6C: D86C8260 47000004
	ds_read_b32 v72, v4 offset:37632                           // 000000006C74: D86C9300 48000004
	ds_read_b32 v73, v4 offset:41984                           // 000000006C7C: D86CA400 49000004
	ds_read_b32 v74, v4 offset:37664                           // 000000006C84: D86C9320 4A000004
	ds_read_b32 v75, v4 offset:42016                           // 000000006C8C: D86CA420 4B000004
	ds_read_b32 v76, v4 offset:37696                           // 000000006C94: D86C9340 4C000004
	ds_read_b32 v77, v4 offset:42048                           // 000000006C9C: D86CA440 4D000004
	ds_read_b32 v78, v4 offset:37728                           // 000000006CA4: D86C9360 4E000004
	ds_read_b32 v79, v4 offset:42080                           // 000000006CAC: D86CA460 4F000004
	s_waitcnt lgkmcnt(0)                                       // 000000006CB4: BF8CC07F
	s_mov_b64 exec, s[20:21]                                   // 000000006CB8: BEFE0114
	global_atomic_pk_add_bf16 v80, v64, s[8:9]                 // 000000006CBC: DD488000 00084050
	s_mov_b64 exec, s[36:37]                                   // 000000006CC4: BEFE0124
	s_mov_b64 exec, s[20:21]                                   // 000000006CC8: BEFE0114
	global_atomic_pk_add_bf16 v80, v65, s[8:9] offset:256      // 000000006CCC: DD488100 00084150
	s_mov_b64 exec, s[36:37]                                   // 000000006CD4: BEFE0124
	s_mov_b64 exec, s[22:23]                                   // 000000006CD8: BEFE0116
	global_atomic_pk_add_bf16 v82, v66, s[8:9]                 // 000000006CDC: DD488000 00084252
	s_mov_b64 exec, s[36:37]                                   // 000000006CE4: BEFE0124
	s_mov_b64 exec, s[22:23]                                   // 000000006CE8: BEFE0116
	global_atomic_pk_add_bf16 v82, v67, s[8:9] offset:256      // 000000006CEC: DD488100 00084352
	s_mov_b64 exec, s[36:37]                                   // 000000006CF4: BEFE0124
	s_mov_b64 exec, s[24:25]                                   // 000000006CF8: BEFE0118
	global_atomic_pk_add_bf16 v84, v68, s[8:9]                 // 000000006CFC: DD488000 00084454
	s_mov_b64 exec, s[36:37]                                   // 000000006D04: BEFE0124
	s_mov_b64 exec, s[24:25]                                   // 000000006D08: BEFE0118
	global_atomic_pk_add_bf16 v84, v69, s[8:9] offset:256      // 000000006D0C: DD488100 00084554
	s_mov_b64 exec, s[36:37]                                   // 000000006D14: BEFE0124
	s_mov_b64 exec, s[26:27]                                   // 000000006D18: BEFE011A
	global_atomic_pk_add_bf16 v86, v70, s[8:9]                 // 000000006D1C: DD488000 00084656
	s_mov_b64 exec, s[36:37]                                   // 000000006D24: BEFE0124
	s_mov_b64 exec, s[26:27]                                   // 000000006D28: BEFE011A
	global_atomic_pk_add_bf16 v86, v71, s[8:9] offset:256      // 000000006D2C: DD488100 00084756
	s_mov_b64 exec, s[36:37]                                   // 000000006D34: BEFE0124
	s_mov_b64 exec, s[28:29]                                   // 000000006D38: BEFE011C
	global_atomic_pk_add_bf16 v88, v72, s[8:9]                 // 000000006D3C: DD488000 00084858
	s_mov_b64 exec, s[36:37]                                   // 000000006D44: BEFE0124
	s_mov_b64 exec, s[28:29]                                   // 000000006D48: BEFE011C
	global_atomic_pk_add_bf16 v88, v73, s[8:9] offset:256      // 000000006D4C: DD488100 00084958
	s_mov_b64 exec, s[36:37]                                   // 000000006D54: BEFE0124
	s_mov_b64 exec, s[30:31]                                   // 000000006D58: BEFE011E
	global_atomic_pk_add_bf16 v90, v74, s[8:9]                 // 000000006D5C: DD488000 00084A5A
	s_mov_b64 exec, s[36:37]                                   // 000000006D64: BEFE0124
	s_mov_b64 exec, s[30:31]                                   // 000000006D68: BEFE011E
	global_atomic_pk_add_bf16 v90, v75, s[8:9] offset:256      // 000000006D6C: DD488100 00084B5A
	s_mov_b64 exec, s[36:37]                                   // 000000006D74: BEFE0124
	s_mov_b64 exec, s[32:33]                                   // 000000006D78: BEFE0120
	global_atomic_pk_add_bf16 v92, v76, s[8:9]                 // 000000006D7C: DD488000 00084C5C
	s_mov_b64 exec, s[36:37]                                   // 000000006D84: BEFE0124
	s_mov_b64 exec, s[32:33]                                   // 000000006D88: BEFE0120
	global_atomic_pk_add_bf16 v92, v77, s[8:9] offset:256      // 000000006D8C: DD488100 00084D5C
	s_mov_b64 exec, s[36:37]                                   // 000000006D94: BEFE0124
	s_mov_b64 exec, s[34:35]                                   // 000000006D98: BEFE0122
	global_atomic_pk_add_bf16 v94, v78, s[8:9]                 // 000000006D9C: DD488000 00084E5E
	s_mov_b64 exec, s[36:37]                                   // 000000006DA4: BEFE0124
	s_mov_b64 exec, s[34:35]                                   // 000000006DA8: BEFE0122
	global_atomic_pk_add_bf16 v94, v79, s[8:9] offset:256      // 000000006DAC: DD488100 00084F5E
	s_mov_b64 exec, s[36:37]                                   // 000000006DB4: BEFE0124
	s_add_u32 s8, s59, s8                                      // 000000006DB8: 8008083B
	s_addc_u32 s9, 0, s9                                       // 000000006DBC: 82090980
	s_addk_i32 s80, 0x100                                      // 000000006DC0: B7500100
	s_cmp_lt_i32 s80, s81                                      // 000000006DC4: BF045150
	s_cbranch_scc0 label_10B4                                  // 000000006DC8: BF840001
	s_branch label_0AFF                                        // 000000006DCC: BF82FA4B

0000000000006dd0 <label_10B4>:
	s_nop 0                                                    // 000000006DD0: BF800000
	s_nop 0                                                    // 000000006DD4: BF800000
	s_branch label_1F0E                                        // 000000006DD8: BF820E57

0000000000006ddc <label_10B7>:
	s_waitcnt vmcnt(12) lgkmcnt(0)                             // 000000006DDC: BF8C007C
	s_barrier                                                  // 000000006DE0: BF8A0000
	v_mfma_i32_16x16x32_i8 v[128:131], a[0:1], v[168:169], v[128:131]// 000000006DE4: D3D70080 0E035100
	buffer_load_dwordx4 a[80:83], v34, s[92:95], 0 offen       // 000000006DEC: E05C1000 80975022
	v_mfma_i32_16x16x32_i8 v[128:131], a[2:3], v[170:171], v[128:131]// 000000006DF4: D3D70080 0E035502
	v_mfma_i32_16x16x32_i8 v[128:131], a[4:5], v[172:173], v[128:131]// 000000006DFC: D3D70080 0E035904
	buffer_load_dword v26, s[20:23], 0 offen lds               // 000000006E04: E0511000 8005001A
	s_add_u32 m0, 0x100, s51                                   // 000000006E0C: 807C33FF 00000100
	v_mfma_i32_16x16x32_i8 v[128:131], a[6:7], v[174:175], v[128:131]// 000000006E14: D3D70080 0E035D06
	v_mfma_i32_16x16x32_i8 v[128:131], a[8:9], v[176:177], v[128:131]// 000000006E1C: D3D70080 0E036108
	buffer_load_dwordx4 a[84:87], v34, s[92:95], 0 offen offset:1024// 000000006E24: E05C1400 80975422
	v_mfma_i32_16x16x32_i8 v[128:131], a[10:11], v[178:179], v[128:131]// 000000006E2C: D3D70080 0E03650A
	v_mfma_i32_16x16x32_i8 v[128:131], a[12:13], v[180:181], v[128:131]// 000000006E34: D3D70080 0E03690C
	buffer_load_dword v27, s[20:23], 0 offen lds               // 000000006E3C: E0511000 8005001B
	s_add_u32 m0, 0x200, s51                                   // 000000006E44: 807C33FF 00000200
	v_mfma_i32_16x16x32_i8 v[128:131], a[14:15], v[182:183], v[128:131]// 000000006E4C: D3D70080 0E036D0E
	v_mfma_i32_16x16x32_i8 v[132:135], a[0:1], v[184:185], v[132:135]// 000000006E54: D3D70084 0E137100
	buffer_load_dwordx4 a[88:91], v34, s[92:95], 0 offen offset:2048// 000000006E5C: E05C1800 80975822
	v_mfma_i32_16x16x32_i8 v[132:135], a[2:3], v[186:187], v[132:135]// 000000006E64: D3D70084 0E137502
	v_mfma_i32_16x16x32_i8 v[132:135], a[4:5], v[188:189], v[132:135]// 000000006E6C: D3D70084 0E137904
	buffer_load_dword v28, s[20:23], 0 offen lds               // 000000006E74: E0511000 8005001C
	s_add_u32 m0, 0x300, s51                                   // 000000006E7C: 807C33FF 00000300
	v_mfma_i32_16x16x32_i8 v[132:135], a[6:7], v[190:191], v[132:135]// 000000006E84: D3D70084 0E137D06
	v_mfma_i32_16x16x32_i8 v[132:135], a[8:9], v[192:193], v[132:135]// 000000006E8C: D3D70084 0E138108
	buffer_load_dwordx4 a[92:95], v34, s[92:95], 0 offen offset:3072// 000000006E94: E05C1C00 80975C22
	v_mfma_i32_16x16x32_i8 v[132:135], a[10:11], v[194:195], v[132:135]// 000000006E9C: D3D70084 0E13850A
	v_mfma_i32_16x16x32_i8 v[132:135], a[12:13], v[196:197], v[132:135]// 000000006EA4: D3D70084 0E13890C
	buffer_load_dword v29, s[20:23], 0 offen lds               // 000000006EAC: E0511000 8005001D
	s_add_u32 m0, 0x400, s51                                   // 000000006EB4: 807C33FF 00000400
	v_mfma_i32_16x16x32_i8 v[132:135], a[14:15], v[198:199], v[132:135]// 000000006EBC: D3D70084 0E138D0E
	v_mfma_i32_16x16x32_i8 v[136:139], a[16:17], v[168:169], v[136:139]// 000000006EC4: D3D70088 0E235110
	buffer_load_dwordx4 a[96:99], v35, s[92:95], 0 offen       // 000000006ECC: E05C1000 80976023
	v_mfma_i32_16x16x32_i8 v[136:139], a[18:19], v[170:171], v[136:139]// 000000006ED4: D3D70088 0E235512
	v_mfma_i32_16x16x32_i8 v[136:139], a[20:21], v[172:173], v[136:139]// 000000006EDC: D3D70088 0E235914
	buffer_load_dword v30, s[20:23], 0 offen lds               // 000000006EE4: E0511000 8005001E
	s_add_u32 m0, 0x500, s51                                   // 000000006EEC: 807C33FF 00000500
	v_mfma_i32_16x16x32_i8 v[136:139], a[22:23], v[174:175], v[136:139]// 000000006EF4: D3D70088 0E235D16
	v_mfma_i32_16x16x32_i8 v[136:139], a[24:25], v[176:177], v[136:139]// 000000006EFC: D3D70088 0E236118
	buffer_load_dwordx4 a[100:103], v35, s[92:95], 0 offen offset:1024// 000000006F04: E05C1400 80976423
	v_mfma_i32_16x16x32_i8 v[136:139], a[26:27], v[178:179], v[136:139]// 000000006F0C: D3D70088 0E23651A
	v_mfma_i32_16x16x32_i8 v[136:139], a[28:29], v[180:181], v[136:139]// 000000006F14: D3D70088 0E23691C
	buffer_load_dword v31, s[20:23], 0 offen lds               // 000000006F1C: E0511000 8005001F
	s_add_u32 m0, 0x600, s51                                   // 000000006F24: 807C33FF 00000600
	v_mfma_i32_16x16x32_i8 v[136:139], a[30:31], v[182:183], v[136:139]// 000000006F2C: D3D70088 0E236D1E
	v_mfma_i32_16x16x32_i8 v[140:143], a[16:17], v[184:185], v[140:143]// 000000006F34: D3D7008C 0E337110
	buffer_load_dwordx4 a[104:107], v35, s[92:95], 0 offen offset:2048// 000000006F3C: E05C1800 80976823
	v_mfma_i32_16x16x32_i8 v[140:143], a[18:19], v[186:187], v[140:143]// 000000006F44: D3D7008C 0E337512
	v_mfma_i32_16x16x32_i8 v[140:143], a[20:21], v[188:189], v[140:143]// 000000006F4C: D3D7008C 0E337914
	buffer_load_dword v32, s[20:23], 0 offen lds               // 000000006F54: E0511000 80050020
	s_add_u32 m0, 0x700, s51                                   // 000000006F5C: 807C33FF 00000700
	v_mfma_i32_16x16x32_i8 v[140:143], a[22:23], v[190:191], v[140:143]// 000000006F64: D3D7008C 0E337D16
	v_mfma_i32_16x16x32_i8 v[140:143], a[24:25], v[192:193], v[140:143]// 000000006F6C: D3D7008C 0E338118
	buffer_load_dwordx4 a[108:111], v35, s[92:95], 0 offen offset:3072// 000000006F74: E05C1C00 80976C23
	v_mfma_i32_16x16x32_i8 v[140:143], a[26:27], v[194:195], v[140:143]// 000000006F7C: D3D7008C 0E33851A
	v_mfma_i32_16x16x32_i8 v[140:143], a[28:29], v[196:197], v[140:143]// 000000006F84: D3D7008C 0E33891C
	buffer_load_dword v33, s[20:23], 0 offen lds               // 000000006F8C: E0511000 80050021
	s_add_u32 m0, 0, s50                                       // 000000006F94: 807C3280
	v_mfma_i32_16x16x32_i8 v[140:143], a[30:31], v[198:199], v[140:143]// 000000006F98: D3D7008C 0E338D1E
	s_waitcnt vmcnt(24)                                        // 000000006FA0: BF8C4F78
	v_mfma_i32_16x16x32_i8 v[144:147], a[32:33], v[168:169], v[144:147]// 000000006FA4: D3D70090 0E435120
	buffer_load_dwordx4 a[112:115], v36, s[92:95], 0 offen     // 000000006FAC: E05C1000 80977024
	v_mfma_i32_16x16x32_i8 v[144:147], a[34:35], v[170:171], v[144:147]// 000000006FB4: D3D70090 0E435522
	v_mfma_i32_16x16x32_i8 v[144:147], a[36:37], v[172:173], v[144:147]// 000000006FBC: D3D70090 0E435924
	v_mfma_i32_16x16x32_i8 v[144:147], a[38:39], v[174:175], v[144:147]// 000000006FC4: D3D70090 0E435D26
	v_mfma_i32_16x16x32_i8 v[144:147], a[40:41], v[176:177], v[144:147]// 000000006FCC: D3D70090 0E436128
	buffer_load_dwordx4 a[116:119], v36, s[92:95], 0 offen offset:1024// 000000006FD4: E05C1400 80977424
	v_mfma_i32_16x16x32_i8 v[144:147], a[42:43], v[178:179], v[144:147]// 000000006FDC: D3D70090 0E43652A
	v_mfma_i32_16x16x32_i8 v[144:147], a[44:45], v[180:181], v[144:147]// 000000006FE4: D3D70090 0E43692C
	v_mfma_i32_16x16x32_i8 v[144:147], a[46:47], v[182:183], v[144:147]// 000000006FEC: D3D70090 0E436D2E
	v_mfma_i32_16x16x32_i8 v[148:151], a[32:33], v[184:185], v[148:151]// 000000006FF4: D3D70094 0E537120
	buffer_load_dwordx4 a[120:123], v36, s[92:95], 0 offen offset:2048// 000000006FFC: E05C1800 80977824
	v_mfma_i32_16x16x32_i8 v[148:151], a[34:35], v[186:187], v[148:151]// 000000007004: D3D70094 0E537522
	v_mfma_i32_16x16x32_i8 v[148:151], a[36:37], v[188:189], v[148:151]// 00000000700C: D3D70094 0E537924
	v_mfma_i32_16x16x32_i8 v[148:151], a[38:39], v[190:191], v[148:151]// 000000007014: D3D70094 0E537D26
	v_mfma_i32_16x16x32_i8 v[148:151], a[40:41], v[192:193], v[148:151]// 00000000701C: D3D70094 0E538128
	buffer_load_dwordx4 a[124:127], v36, s[92:95], 0 offen offset:3072// 000000007024: E05C1C00 80977C24
	v_mfma_i32_16x16x32_i8 v[148:151], a[42:43], v[194:195], v[148:151]// 00000000702C: D3D70094 0E53852A
	v_mfma_i32_16x16x32_i8 v[148:151], a[44:45], v[196:197], v[148:151]// 000000007034: D3D70094 0E53892C
	v_mfma_i32_16x16x32_i8 v[148:151], a[46:47], v[198:199], v[148:151]// 00000000703C: D3D70094 0E538D2E
	s_waitcnt vmcnt(24)                                        // 000000007044: BF8C4F78
	v_mfma_i32_16x16x32_i8 v[152:155], a[48:49], v[168:169], v[152:155]// 000000007048: D3D70098 0E635130
	buffer_load_dwordx4 a[128:131], v37, s[92:95], 0 offen     // 000000007050: E05C1000 80978025
	v_mfma_i32_16x16x32_i8 v[152:155], a[50:51], v[170:171], v[152:155]// 000000007058: D3D70098 0E635532
	v_mfma_i32_16x16x32_i8 v[152:155], a[52:53], v[172:173], v[152:155]// 000000007060: D3D70098 0E635934
	v_mfma_i32_16x16x32_i8 v[152:155], a[54:55], v[174:175], v[152:155]// 000000007068: D3D70098 0E635D36
	v_mfma_i32_16x16x32_i8 v[152:155], a[56:57], v[176:177], v[152:155]// 000000007070: D3D70098 0E636138
	buffer_load_dwordx4 a[132:135], v37, s[92:95], 0 offen offset:1024// 000000007078: E05C1400 80978425
	v_mfma_i32_16x16x32_i8 v[152:155], a[58:59], v[178:179], v[152:155]// 000000007080: D3D70098 0E63653A
	v_mfma_i32_16x16x32_i8 v[152:155], a[60:61], v[180:181], v[152:155]// 000000007088: D3D70098 0E63693C
	v_mfma_i32_16x16x32_i8 v[152:155], a[62:63], v[182:183], v[152:155]// 000000007090: D3D70098 0E636D3E
	v_mfma_i32_16x16x32_i8 v[156:159], a[48:49], v[184:185], v[156:159]// 000000007098: D3D7009C 0E737130
	buffer_load_dwordx4 a[136:139], v37, s[92:95], 0 offen offset:2048// 0000000070A0: E05C1800 80978825
	v_mfma_i32_16x16x32_i8 v[156:159], a[50:51], v[186:187], v[156:159]// 0000000070A8: D3D7009C 0E737532
	v_mfma_i32_16x16x32_i8 v[156:159], a[52:53], v[188:189], v[156:159]// 0000000070B0: D3D7009C 0E737934
	v_mfma_i32_16x16x32_i8 v[156:159], a[54:55], v[190:191], v[156:159]// 0000000070B8: D3D7009C 0E737D36
	v_mfma_i32_16x16x32_i8 v[156:159], a[56:57], v[192:193], v[156:159]// 0000000070C0: D3D7009C 0E738138
	buffer_load_dwordx4 a[140:143], v37, s[92:95], 0 offen offset:3072// 0000000070C8: E05C1C00 80978C25
	v_mfma_i32_16x16x32_i8 v[156:159], a[58:59], v[194:195], v[156:159]// 0000000070D0: D3D7009C 0E73853A
	v_mfma_i32_16x16x32_i8 v[156:159], a[60:61], v[196:197], v[156:159]// 0000000070D8: D3D7009C 0E73893C
	v_mfma_i32_16x16x32_i8 v[156:159], a[62:63], v[198:199], v[156:159]// 0000000070E0: D3D7009C 0E738D3E
	s_waitcnt vmcnt(24)                                        // 0000000070E8: BF8C4F78
	v_mfma_i32_16x16x32_i8 v[160:163], a[64:65], v[168:169], v[160:163]// 0000000070EC: D3D700A0 0E835140
	buffer_load_dwordx4 a[144:147], v38, s[92:95], 0 offen     // 0000000070F4: E05C1000 80979026
	v_mfma_i32_16x16x32_i8 v[160:163], a[66:67], v[170:171], v[160:163]// 0000000070FC: D3D700A0 0E835542
	v_mfma_i32_16x16x32_i8 v[160:163], a[68:69], v[172:173], v[160:163]// 000000007104: D3D700A0 0E835944
	v_mfma_i32_16x16x32_i8 v[160:163], a[70:71], v[174:175], v[160:163]// 00000000710C: D3D700A0 0E835D46
	v_mfma_i32_16x16x32_i8 v[160:163], a[72:73], v[176:177], v[160:163]// 000000007114: D3D700A0 0E836148
	buffer_load_dwordx4 a[148:151], v38, s[92:95], 0 offen offset:1024// 00000000711C: E05C1400 80979426
	v_mfma_i32_16x16x32_i8 v[160:163], a[74:75], v[178:179], v[160:163]// 000000007124: D3D700A0 0E83654A
	v_mfma_i32_16x16x32_i8 v[160:163], a[76:77], v[180:181], v[160:163]// 00000000712C: D3D700A0 0E83694C
	v_mfma_i32_16x16x32_i8 v[160:163], a[78:79], v[182:183], v[160:163]// 000000007134: D3D700A0 0E836D4E
	v_mfma_i32_16x16x32_i8 v[164:167], a[64:65], v[184:185], v[164:167]// 00000000713C: D3D700A4 0E937140
	buffer_load_dwordx4 a[152:155], v38, s[92:95], 0 offen offset:2048// 000000007144: E05C1800 80979826
	v_mfma_i32_16x16x32_i8 v[164:167], a[66:67], v[186:187], v[164:167]// 00000000714C: D3D700A4 0E937542
	v_mfma_i32_16x16x32_i8 v[164:167], a[68:69], v[188:189], v[164:167]// 000000007154: D3D700A4 0E937944
	v_mfma_i32_16x16x32_i8 v[164:167], a[70:71], v[190:191], v[164:167]// 00000000715C: D3D700A4 0E937D46
	v_mfma_i32_16x16x32_i8 v[164:167], a[72:73], v[192:193], v[164:167]// 000000007164: D3D700A4 0E938148
	buffer_load_dwordx4 a[156:159], v38, s[92:95], 0 offen offset:3072// 00000000716C: E05C1C00 80979C26
	v_mfma_i32_16x16x32_i8 v[164:167], a[74:75], v[194:195], v[164:167]// 000000007174: D3D700A4 0E93854A
	v_mfma_i32_16x16x32_i8 v[164:167], a[76:77], v[196:197], v[164:167]// 00000000717C: D3D700A4 0E93894C
	v_mfma_i32_16x16x32_i8 v[164:167], a[78:79], v[198:199], v[164:167]// 000000007184: D3D700A4 0E938D4E
	s_waitcnt vmcnt(12)                                        // 00000000718C: BF8C0F7C
	s_barrier                                                  // 000000007190: BF8A0000
	v_mfma_i32_16x16x32_i8 v[64:67], a[80:81], v[168:169], v[64:67]// 000000007194: D3D70040 0D035150
	buffer_load_dwordx4 a[0:3], v34, s[24:27], 0 offen         // 00000000719C: E05C1000 80860022
	v_mfma_i32_16x16x32_i8 v[64:67], a[82:83], v[170:171], v[64:67]// 0000000071A4: D3D70040 0D035552
	v_mfma_i32_16x16x32_i8 v[64:67], a[84:85], v[172:173], v[64:67]// 0000000071AC: D3D70040 0D035954
	v_mfma_i32_16x16x32_i8 v[64:67], a[86:87], v[174:175], v[64:67]// 0000000071B4: D3D70040 0D035D56
	v_mfma_i32_16x16x32_i8 v[64:67], a[88:89], v[176:177], v[64:67]// 0000000071BC: D3D70040 0D036158
	buffer_load_dwordx4 a[4:7], v34, s[24:27], 0 offen offset:1024// 0000000071C4: E05C1400 80860422
	v_mfma_i32_16x16x32_i8 v[64:67], a[90:91], v[178:179], v[64:67]// 0000000071CC: D3D70040 0D03655A
	v_mfma_i32_16x16x32_i8 v[64:67], a[92:93], v[180:181], v[64:67]// 0000000071D4: D3D70040 0D03695C
	v_mfma_i32_16x16x32_i8 v[64:67], a[94:95], v[182:183], v[64:67]// 0000000071DC: D3D70040 0D036D5E
	v_mfma_i32_16x16x32_i8 v[68:71], a[80:81], v[184:185], v[68:71]// 0000000071E4: D3D70044 0D137150
	buffer_load_dwordx4 a[8:11], v34, s[24:27], 0 offen offset:2048// 0000000071EC: E05C1800 80860822
	v_mfma_i32_16x16x32_i8 v[68:71], a[82:83], v[186:187], v[68:71]// 0000000071F4: D3D70044 0D137552
	v_mfma_i32_16x16x32_i8 v[68:71], a[84:85], v[188:189], v[68:71]// 0000000071FC: D3D70044 0D137954
	v_mfma_i32_16x16x32_i8 v[68:71], a[86:87], v[190:191], v[68:71]// 000000007204: D3D70044 0D137D56
	v_mfma_i32_16x16x32_i8 v[68:71], a[88:89], v[192:193], v[68:71]// 00000000720C: D3D70044 0D138158
	buffer_load_dwordx4 a[12:15], v34, s[24:27], 0 offen offset:3072// 000000007214: E05C1C00 80860C22
	v_mfma_i32_16x16x32_i8 v[68:71], a[90:91], v[194:195], v[68:71]// 00000000721C: D3D70044 0D13855A
	v_mfma_i32_16x16x32_i8 v[68:71], a[92:93], v[196:197], v[68:71]// 000000007224: D3D70044 0D13895C
	v_mfma_i32_16x16x32_i8 v[68:71], a[94:95], v[198:199], v[68:71]// 00000000722C: D3D70044 0D138D5E
	v_mfma_i32_16x16x32_i8 v[72:75], a[96:97], v[168:169], v[72:75]// 000000007234: D3D70048 0D235160
	buffer_load_dwordx4 a[16:19], v35, s[24:27], 0 offen       // 00000000723C: E05C1000 80861023
	v_mfma_i32_16x16x32_i8 v[72:75], a[98:99], v[170:171], v[72:75]// 000000007244: D3D70048 0D235562
	v_mfma_i32_16x16x32_i8 v[72:75], a[100:101], v[172:173], v[72:75]// 00000000724C: D3D70048 0D235964
	v_mfma_i32_16x16x32_i8 v[72:75], a[102:103], v[174:175], v[72:75]// 000000007254: D3D70048 0D235D66
	v_mfma_i32_16x16x32_i8 v[72:75], a[104:105], v[176:177], v[72:75]// 00000000725C: D3D70048 0D236168
	buffer_load_dwordx4 a[20:23], v35, s[24:27], 0 offen offset:1024// 000000007264: E05C1400 80861423
	v_mfma_i32_16x16x32_i8 v[72:75], a[106:107], v[178:179], v[72:75]// 00000000726C: D3D70048 0D23656A
	v_mfma_i32_16x16x32_i8 v[72:75], a[108:109], v[180:181], v[72:75]// 000000007274: D3D70048 0D23696C
	v_mfma_i32_16x16x32_i8 v[72:75], a[110:111], v[182:183], v[72:75]// 00000000727C: D3D70048 0D236D6E
	v_mfma_i32_16x16x32_i8 v[76:79], a[96:97], v[184:185], v[76:79]// 000000007284: D3D7004C 0D337160
	buffer_load_dwordx4 a[24:27], v35, s[24:27], 0 offen offset:2048// 00000000728C: E05C1800 80861823
	v_mfma_i32_16x16x32_i8 v[76:79], a[98:99], v[186:187], v[76:79]// 000000007294: D3D7004C 0D337562
	v_mfma_i32_16x16x32_i8 v[76:79], a[100:101], v[188:189], v[76:79]// 00000000729C: D3D7004C 0D337964
	v_mfma_i32_16x16x32_i8 v[76:79], a[102:103], v[190:191], v[76:79]// 0000000072A4: D3D7004C 0D337D66
	v_mfma_i32_16x16x32_i8 v[76:79], a[104:105], v[192:193], v[76:79]// 0000000072AC: D3D7004C 0D338168
	buffer_load_dwordx4 a[28:31], v35, s[24:27], 0 offen offset:3072// 0000000072B4: E05C1C00 80861C23
	v_mfma_i32_16x16x32_i8 v[76:79], a[106:107], v[194:195], v[76:79]// 0000000072BC: D3D7004C 0D33856A
	v_mfma_i32_16x16x32_i8 v[76:79], a[108:109], v[196:197], v[76:79]// 0000000072C4: D3D7004C 0D33896C
	v_mfma_i32_16x16x32_i8 v[76:79], a[110:111], v[198:199], v[76:79]// 0000000072CC: D3D7004C 0D338D6E
	s_waitcnt vmcnt(16)                                        // 0000000072D4: BF8C4F70
	v_mfma_i32_16x16x32_i8 v[80:83], a[112:113], v[168:169], v[80:83]// 0000000072D8: D3D70050 0D435170
	buffer_load_dwordx4 a[32:35], v36, s[24:27], 0 offen       // 0000000072E0: E05C1000 80862024
	v_mfma_i32_16x16x32_i8 v[80:83], a[114:115], v[170:171], v[80:83]// 0000000072E8: D3D70050 0D435572
	v_mfma_i32_16x16x32_i8 v[80:83], a[116:117], v[172:173], v[80:83]// 0000000072F0: D3D70050 0D435974
	ds_read_b128 v[200:203], v2 offset:8320                    // 0000000072F8: D9FE2080 C8000002
	v_mfma_i32_16x16x32_i8 v[80:83], a[118:119], v[174:175], v[80:83]// 000000007300: D3D70050 0D435D76
	v_mfma_i32_16x16x32_i8 v[80:83], a[120:121], v[176:177], v[80:83]// 000000007308: D3D70050 0D436178
	buffer_load_dwordx4 a[36:39], v36, s[24:27], 0 offen offset:1024// 000000007310: E05C1400 80862424
	v_mfma_i32_16x16x32_i8 v[80:83], a[122:123], v[178:179], v[80:83]// 000000007318: D3D70050 0D43657A
	v_mfma_i32_16x16x32_i8 v[80:83], a[124:125], v[180:181], v[80:83]// 000000007320: D3D70050 0D43697C
	ds_read_b128 v[204:207], v2 offset:8384                    // 000000007328: D9FE20C0 CC000002
	v_mfma_i32_16x16x32_i8 v[80:83], a[126:127], v[182:183], v[80:83]// 000000007330: D3D70050 0D436D7E
	v_mfma_i32_16x16x32_i8 v[84:87], a[112:113], v[184:185], v[84:87]// 000000007338: D3D70054 0D537170
	buffer_load_dwordx4 a[40:43], v36, s[24:27], 0 offen offset:2048// 000000007340: E05C1800 80862824
	v_mfma_i32_16x16x32_i8 v[84:87], a[114:115], v[186:187], v[84:87]// 000000007348: D3D70054 0D537572
	v_mfma_i32_16x16x32_i8 v[84:87], a[116:117], v[188:189], v[84:87]// 000000007350: D3D70054 0D537974
	ds_read_b128 v[208:211], v2 offset:8448                    // 000000007358: D9FE2100 D0000002
	v_mfma_i32_16x16x32_i8 v[84:87], a[118:119], v[190:191], v[84:87]// 000000007360: D3D70054 0D537D76
	v_mfma_i32_16x16x32_i8 v[84:87], a[120:121], v[192:193], v[84:87]// 000000007368: D3D70054 0D538178
	buffer_load_dwordx4 a[44:47], v36, s[24:27], 0 offen offset:3072// 000000007370: E05C1C00 80862C24
	v_mfma_i32_16x16x32_i8 v[84:87], a[122:123], v[194:195], v[84:87]// 000000007378: D3D70054 0D53857A
	v_mfma_i32_16x16x32_i8 v[84:87], a[124:125], v[196:197], v[84:87]// 000000007380: D3D70054 0D53897C
	ds_read_b128 v[212:215], v2 offset:8512                    // 000000007388: D9FE2140 D4000002
	v_mfma_i32_16x16x32_i8 v[84:87], a[126:127], v[198:199], v[84:87]// 000000007390: D3D70054 0D538D7E
	s_waitcnt vmcnt(16)                                        // 000000007398: BF8C4F70
	v_mfma_i32_16x16x32_i8 v[88:91], a[128:129], v[168:169], v[88:91]// 00000000739C: D3D70058 0D635180
	buffer_load_dwordx4 a[48:51], v37, s[24:27], 0 offen       // 0000000073A4: E05C1000 80863025
	v_mfma_i32_16x16x32_i8 v[88:91], a[130:131], v[170:171], v[88:91]// 0000000073AC: D3D70058 0D635582
	v_mfma_i32_16x16x32_i8 v[88:91], a[132:133], v[172:173], v[88:91]// 0000000073B4: D3D70058 0D635984
	ds_read_b128 v[216:219], v2 offset:9344                    // 0000000073BC: D9FE2480 D8000002
	v_mfma_i32_16x16x32_i8 v[88:91], a[134:135], v[174:175], v[88:91]// 0000000073C4: D3D70058 0D635D86
	v_mfma_i32_16x16x32_i8 v[88:91], a[136:137], v[176:177], v[88:91]// 0000000073CC: D3D70058 0D636188
	buffer_load_dwordx4 a[52:55], v37, s[24:27], 0 offen offset:1024// 0000000073D4: E05C1400 80863425
	v_mfma_i32_16x16x32_i8 v[88:91], a[138:139], v[178:179], v[88:91]// 0000000073DC: D3D70058 0D63658A
	v_mfma_i32_16x16x32_i8 v[88:91], a[140:141], v[180:181], v[88:91]// 0000000073E4: D3D70058 0D63698C
	ds_read_b128 v[220:223], v2 offset:9408                    // 0000000073EC: D9FE24C0 DC000002
	v_mfma_i32_16x16x32_i8 v[88:91], a[142:143], v[182:183], v[88:91]// 0000000073F4: D3D70058 0D636D8E
	v_mfma_i32_16x16x32_i8 v[92:95], a[128:129], v[184:185], v[92:95]// 0000000073FC: D3D7005C 0D737180
	buffer_load_dwordx4 a[56:59], v37, s[24:27], 0 offen offset:2048// 000000007404: E05C1800 80863825
	v_mfma_i32_16x16x32_i8 v[92:95], a[130:131], v[186:187], v[92:95]// 00000000740C: D3D7005C 0D737582
	v_mfma_i32_16x16x32_i8 v[92:95], a[132:133], v[188:189], v[92:95]// 000000007414: D3D7005C 0D737984
	ds_read_b128 v[224:227], v2 offset:9472                    // 00000000741C: D9FE2500 E0000002
	v_mfma_i32_16x16x32_i8 v[92:95], a[134:135], v[190:191], v[92:95]// 000000007424: D3D7005C 0D737D86
	v_mfma_i32_16x16x32_i8 v[92:95], a[136:137], v[192:193], v[92:95]// 00000000742C: D3D7005C 0D738188
	buffer_load_dwordx4 a[60:63], v37, s[24:27], 0 offen offset:3072// 000000007434: E05C1C00 80863C25
	v_mfma_i32_16x16x32_i8 v[92:95], a[138:139], v[194:195], v[92:95]// 00000000743C: D3D7005C 0D73858A
	v_mfma_i32_16x16x32_i8 v[92:95], a[140:141], v[196:197], v[92:95]// 000000007444: D3D7005C 0D73898C
	ds_read_b128 v[228:231], v2 offset:9536                    // 00000000744C: D9FE2540 E4000002
	v_mfma_i32_16x16x32_i8 v[92:95], a[142:143], v[198:199], v[92:95]// 000000007454: D3D7005C 0D738D8E
	s_waitcnt vmcnt(16)                                        // 00000000745C: BF8C4F70
	v_mfma_i32_16x16x32_i8 v[96:99], a[144:145], v[168:169], v[96:99]// 000000007460: D3D70060 0D835190
	buffer_load_dwordx4 a[64:67], v38, s[24:27], 0 offen       // 000000007468: E05C1000 80864026
	v_mfma_i32_16x16x32_i8 v[96:99], a[146:147], v[170:171], v[96:99]// 000000007470: D3D70060 0D835592
	v_mfma_i32_16x16x32_i8 v[96:99], a[148:149], v[172:173], v[96:99]// 000000007478: D3D70060 0D835994
	v_mfma_i32_16x16x32_i8 v[96:99], a[150:151], v[174:175], v[96:99]// 000000007480: D3D70060 0D835D96
	v_mfma_i32_16x16x32_i8 v[96:99], a[152:153], v[176:177], v[96:99]// 000000007488: D3D70060 0D836198
	buffer_load_dwordx4 a[68:71], v38, s[24:27], 0 offen offset:1024// 000000007490: E05C1400 80864426
	v_mfma_i32_16x16x32_i8 v[96:99], a[154:155], v[178:179], v[96:99]// 000000007498: D3D70060 0D83659A
	v_mfma_i32_16x16x32_i8 v[96:99], a[156:157], v[180:181], v[96:99]// 0000000074A0: D3D70060 0D83699C
	v_mfma_i32_16x16x32_i8 v[96:99], a[158:159], v[182:183], v[96:99]// 0000000074A8: D3D70060 0D836D9E
	v_mfma_i32_16x16x32_i8 v[100:103], a[144:145], v[184:185], v[100:103]// 0000000074B0: D3D70064 0D937190
	buffer_load_dwordx4 a[72:75], v38, s[24:27], 0 offen offset:2048// 0000000074B8: E05C1800 80864826
	v_mfma_i32_16x16x32_i8 v[100:103], a[146:147], v[186:187], v[100:103]// 0000000074C0: D3D70064 0D937592
	v_mfma_i32_16x16x32_i8 v[100:103], a[148:149], v[188:189], v[100:103]// 0000000074C8: D3D70064 0D937994
	v_mfma_i32_16x16x32_i8 v[100:103], a[150:151], v[190:191], v[100:103]// 0000000074D0: D3D70064 0D937D96
	v_mfma_i32_16x16x32_i8 v[100:103], a[152:153], v[192:193], v[100:103]// 0000000074D8: D3D70064 0D938198
	buffer_load_dwordx4 a[76:79], v38, s[24:27], 0 offen offset:3072// 0000000074E0: E05C1C00 80864C26
	v_mfma_i32_16x16x32_i8 v[100:103], a[154:155], v[194:195], v[100:103]// 0000000074E8: D3D70064 0D93859A
	v_mfma_i32_16x16x32_i8 v[100:103], a[156:157], v[196:197], v[100:103]// 0000000074F0: D3D70064 0D93899C
	v_mfma_i32_16x16x32_i8 v[100:103], a[158:159], v[198:199], v[100:103]// 0000000074F8: D3D70064 0D938D9E
	s_add_u32 s60, 0x200, s80                                  // 000000007500: 803C50FF 00000200
	s_cmp_lt_u32 s60, s81                                      // 000000007508: BF0A513C
	s_cselect_b32 s57, s57, 0                                  // 00000000750C: 85398039
	s_add_u32 s60, 0x200, s80                                  // 000000007510: 803C50FF 00000200
	s_cmp_lt_u32 s60, s81                                      // 000000007518: BF0A513C
	s_cselect_b32 s58, s58, 0                                  // 00000000751C: 853A803A
	s_add_u32 s20, s57, s20                                    // 000000007520: 80141439
	s_addc_u32 s21, 0, s21                                     // 000000007524: 82151580
	s_add_u32 s24, s58, s24                                    // 000000007528: 8018183A
	s_addc_u32 s25, 0, s25                                     // 00000000752C: 82191980
	s_add_u32 s92, s90, s92                                    // 000000007530: 805C5C5A
	s_addc_u32 s93, 0, s93                                     // 000000007534: 825D5D80
	s_addk_i32 s80, 0x100                                      // 000000007538: B7500100
	s_cmp_lt_i32 s80, s81                                      // 00000000753C: BF045150
	s_cbranch_scc0 label_146C                                  // 000000007540: BF8401DB
	s_waitcnt vmcnt(12) lgkmcnt(0)                             // 000000007544: BF8C007C
	s_barrier                                                  // 000000007548: BF8A0000
	v_mfma_i32_16x16x32_i8 v[128:131], a[0:1], v[200:201], v[128:131]// 00000000754C: D3D70080 0E039100
	buffer_load_dwordx4 a[80:83], v34, s[92:95], 0 offen       // 000000007554: E05C1000 80975022
	v_mfma_i32_16x16x32_i8 v[128:131], a[2:3], v[202:203], v[128:131]// 00000000755C: D3D70080 0E039502
	v_mfma_i32_16x16x32_i8 v[128:131], a[4:5], v[204:205], v[128:131]// 000000007564: D3D70080 0E039904
	buffer_load_dword v26, s[20:23], 0 offen lds               // 00000000756C: E0511000 8005001A
	s_add_u32 m0, 0x100, s50                                   // 000000007574: 807C32FF 00000100
	v_mfma_i32_16x16x32_i8 v[128:131], a[6:7], v[206:207], v[128:131]// 00000000757C: D3D70080 0E039D06
	v_mfma_i32_16x16x32_i8 v[128:131], a[8:9], v[208:209], v[128:131]// 000000007584: D3D70080 0E03A108
	buffer_load_dwordx4 a[84:87], v34, s[92:95], 0 offen offset:1024// 00000000758C: E05C1400 80975422
	v_mfma_i32_16x16x32_i8 v[128:131], a[10:11], v[210:211], v[128:131]// 000000007594: D3D70080 0E03A50A
	v_mfma_i32_16x16x32_i8 v[128:131], a[12:13], v[212:213], v[128:131]// 00000000759C: D3D70080 0E03A90C
	buffer_load_dword v27, s[20:23], 0 offen lds               // 0000000075A4: E0511000 8005001B
	s_add_u32 m0, 0x200, s50                                   // 0000000075AC: 807C32FF 00000200
	v_mfma_i32_16x16x32_i8 v[128:131], a[14:15], v[214:215], v[128:131]// 0000000075B4: D3D70080 0E03AD0E
	v_mfma_i32_16x16x32_i8 v[132:135], a[0:1], v[216:217], v[132:135]// 0000000075BC: D3D70084 0E13B100
	buffer_load_dwordx4 a[88:91], v34, s[92:95], 0 offen offset:2048// 0000000075C4: E05C1800 80975822
	v_mfma_i32_16x16x32_i8 v[132:135], a[2:3], v[218:219], v[132:135]// 0000000075CC: D3D70084 0E13B502
	v_mfma_i32_16x16x32_i8 v[132:135], a[4:5], v[220:221], v[132:135]// 0000000075D4: D3D70084 0E13B904
	buffer_load_dword v28, s[20:23], 0 offen lds               // 0000000075DC: E0511000 8005001C
	s_add_u32 m0, 0x300, s50                                   // 0000000075E4: 807C32FF 00000300
	v_mfma_i32_16x16x32_i8 v[132:135], a[6:7], v[222:223], v[132:135]// 0000000075EC: D3D70084 0E13BD06
	v_mfma_i32_16x16x32_i8 v[132:135], a[8:9], v[224:225], v[132:135]// 0000000075F4: D3D70084 0E13C108
	buffer_load_dwordx4 a[92:95], v34, s[92:95], 0 offen offset:3072// 0000000075FC: E05C1C00 80975C22
	v_mfma_i32_16x16x32_i8 v[132:135], a[10:11], v[226:227], v[132:135]// 000000007604: D3D70084 0E13C50A
	v_mfma_i32_16x16x32_i8 v[132:135], a[12:13], v[228:229], v[132:135]// 00000000760C: D3D70084 0E13C90C
	buffer_load_dword v29, s[20:23], 0 offen lds               // 000000007614: E0511000 8005001D
	s_add_u32 m0, 0x400, s50                                   // 00000000761C: 807C32FF 00000400
	v_mfma_i32_16x16x32_i8 v[132:135], a[14:15], v[230:231], v[132:135]// 000000007624: D3D70084 0E13CD0E
	v_mfma_i32_16x16x32_i8 v[136:139], a[16:17], v[200:201], v[136:139]// 00000000762C: D3D70088 0E239110
	buffer_load_dwordx4 a[96:99], v35, s[92:95], 0 offen       // 000000007634: E05C1000 80976023
	v_mfma_i32_16x16x32_i8 v[136:139], a[18:19], v[202:203], v[136:139]// 00000000763C: D3D70088 0E239512
	v_mfma_i32_16x16x32_i8 v[136:139], a[20:21], v[204:205], v[136:139]// 000000007644: D3D70088 0E239914
	buffer_load_dword v30, s[20:23], 0 offen lds               // 00000000764C: E0511000 8005001E
	s_add_u32 m0, 0x500, s50                                   // 000000007654: 807C32FF 00000500
	v_mfma_i32_16x16x32_i8 v[136:139], a[22:23], v[206:207], v[136:139]// 00000000765C: D3D70088 0E239D16
	v_mfma_i32_16x16x32_i8 v[136:139], a[24:25], v[208:209], v[136:139]// 000000007664: D3D70088 0E23A118
	buffer_load_dwordx4 a[100:103], v35, s[92:95], 0 offen offset:1024// 00000000766C: E05C1400 80976423
	v_mfma_i32_16x16x32_i8 v[136:139], a[26:27], v[210:211], v[136:139]// 000000007674: D3D70088 0E23A51A
	v_mfma_i32_16x16x32_i8 v[136:139], a[28:29], v[212:213], v[136:139]// 00000000767C: D3D70088 0E23A91C
	buffer_load_dword v31, s[20:23], 0 offen lds               // 000000007684: E0511000 8005001F
	s_add_u32 m0, 0x600, s50                                   // 00000000768C: 807C32FF 00000600
	v_mfma_i32_16x16x32_i8 v[136:139], a[30:31], v[214:215], v[136:139]// 000000007694: D3D70088 0E23AD1E
	v_mfma_i32_16x16x32_i8 v[140:143], a[16:17], v[216:217], v[140:143]// 00000000769C: D3D7008C 0E33B110
	buffer_load_dwordx4 a[104:107], v35, s[92:95], 0 offen offset:2048// 0000000076A4: E05C1800 80976823
	v_mfma_i32_16x16x32_i8 v[140:143], a[18:19], v[218:219], v[140:143]// 0000000076AC: D3D7008C 0E33B512
	v_mfma_i32_16x16x32_i8 v[140:143], a[20:21], v[220:221], v[140:143]// 0000000076B4: D3D7008C 0E33B914
	buffer_load_dword v32, s[20:23], 0 offen lds               // 0000000076BC: E0511000 80050020
	s_add_u32 m0, 0x700, s50                                   // 0000000076C4: 807C32FF 00000700
	v_mfma_i32_16x16x32_i8 v[140:143], a[22:23], v[222:223], v[140:143]// 0000000076CC: D3D7008C 0E33BD16
	v_mfma_i32_16x16x32_i8 v[140:143], a[24:25], v[224:225], v[140:143]// 0000000076D4: D3D7008C 0E33C118
	buffer_load_dwordx4 a[108:111], v35, s[92:95], 0 offen offset:3072// 0000000076DC: E05C1C00 80976C23
	v_mfma_i32_16x16x32_i8 v[140:143], a[26:27], v[226:227], v[140:143]// 0000000076E4: D3D7008C 0E33C51A
	v_mfma_i32_16x16x32_i8 v[140:143], a[28:29], v[228:229], v[140:143]// 0000000076EC: D3D7008C 0E33C91C
	buffer_load_dword v33, s[20:23], 0 offen lds               // 0000000076F4: E0511000 80050021
	s_add_u32 m0, 0, s51                                       // 0000000076FC: 807C3380
	v_mfma_i32_16x16x32_i8 v[140:143], a[30:31], v[230:231], v[140:143]// 000000007700: D3D7008C 0E33CD1E
	s_waitcnt vmcnt(24)                                        // 000000007708: BF8C4F78
	v_mfma_i32_16x16x32_i8 v[144:147], a[32:33], v[200:201], v[144:147]// 00000000770C: D3D70090 0E439120
	buffer_load_dwordx4 a[112:115], v36, s[92:95], 0 offen     // 000000007714: E05C1000 80977024
	v_mfma_i32_16x16x32_i8 v[144:147], a[34:35], v[202:203], v[144:147]// 00000000771C: D3D70090 0E439522
	v_mfma_i32_16x16x32_i8 v[144:147], a[36:37], v[204:205], v[144:147]// 000000007724: D3D70090 0E439924
	v_mfma_i32_16x16x32_i8 v[144:147], a[38:39], v[206:207], v[144:147]// 00000000772C: D3D70090 0E439D26
	v_mfma_i32_16x16x32_i8 v[144:147], a[40:41], v[208:209], v[144:147]// 000000007734: D3D70090 0E43A128
	buffer_load_dwordx4 a[116:119], v36, s[92:95], 0 offen offset:1024// 00000000773C: E05C1400 80977424
	v_mfma_i32_16x16x32_i8 v[144:147], a[42:43], v[210:211], v[144:147]// 000000007744: D3D70090 0E43A52A
	v_mfma_i32_16x16x32_i8 v[144:147], a[44:45], v[212:213], v[144:147]// 00000000774C: D3D70090 0E43A92C
	v_mfma_i32_16x16x32_i8 v[144:147], a[46:47], v[214:215], v[144:147]// 000000007754: D3D70090 0E43AD2E
	v_mfma_i32_16x16x32_i8 v[148:151], a[32:33], v[216:217], v[148:151]// 00000000775C: D3D70094 0E53B120
	buffer_load_dwordx4 a[120:123], v36, s[92:95], 0 offen offset:2048// 000000007764: E05C1800 80977824
	v_mfma_i32_16x16x32_i8 v[148:151], a[34:35], v[218:219], v[148:151]// 00000000776C: D3D70094 0E53B522
	v_mfma_i32_16x16x32_i8 v[148:151], a[36:37], v[220:221], v[148:151]// 000000007774: D3D70094 0E53B924
	v_mfma_i32_16x16x32_i8 v[148:151], a[38:39], v[222:223], v[148:151]// 00000000777C: D3D70094 0E53BD26
	v_mfma_i32_16x16x32_i8 v[148:151], a[40:41], v[224:225], v[148:151]// 000000007784: D3D70094 0E53C128
	buffer_load_dwordx4 a[124:127], v36, s[92:95], 0 offen offset:3072// 00000000778C: E05C1C00 80977C24
	v_mfma_i32_16x16x32_i8 v[148:151], a[42:43], v[226:227], v[148:151]// 000000007794: D3D70094 0E53C52A
	v_mfma_i32_16x16x32_i8 v[148:151], a[44:45], v[228:229], v[148:151]// 00000000779C: D3D70094 0E53C92C
	v_mfma_i32_16x16x32_i8 v[148:151], a[46:47], v[230:231], v[148:151]// 0000000077A4: D3D70094 0E53CD2E
	s_waitcnt vmcnt(24)                                        // 0000000077AC: BF8C4F78
	v_mfma_i32_16x16x32_i8 v[152:155], a[48:49], v[200:201], v[152:155]// 0000000077B0: D3D70098 0E639130
	buffer_load_dwordx4 a[128:131], v37, s[92:95], 0 offen     // 0000000077B8: E05C1000 80978025
	v_mfma_i32_16x16x32_i8 v[152:155], a[50:51], v[202:203], v[152:155]// 0000000077C0: D3D70098 0E639532
	v_mfma_i32_16x16x32_i8 v[152:155], a[52:53], v[204:205], v[152:155]// 0000000077C8: D3D70098 0E639934
	v_mfma_i32_16x16x32_i8 v[152:155], a[54:55], v[206:207], v[152:155]// 0000000077D0: D3D70098 0E639D36
	v_mfma_i32_16x16x32_i8 v[152:155], a[56:57], v[208:209], v[152:155]// 0000000077D8: D3D70098 0E63A138
	buffer_load_dwordx4 a[132:135], v37, s[92:95], 0 offen offset:1024// 0000000077E0: E05C1400 80978425
	v_mfma_i32_16x16x32_i8 v[152:155], a[58:59], v[210:211], v[152:155]// 0000000077E8: D3D70098 0E63A53A
	v_mfma_i32_16x16x32_i8 v[152:155], a[60:61], v[212:213], v[152:155]// 0000000077F0: D3D70098 0E63A93C
	v_mfma_i32_16x16x32_i8 v[152:155], a[62:63], v[214:215], v[152:155]// 0000000077F8: D3D70098 0E63AD3E
	v_mfma_i32_16x16x32_i8 v[156:159], a[48:49], v[216:217], v[156:159]// 000000007800: D3D7009C 0E73B130
	buffer_load_dwordx4 a[136:139], v37, s[92:95], 0 offen offset:2048// 000000007808: E05C1800 80978825
	v_mfma_i32_16x16x32_i8 v[156:159], a[50:51], v[218:219], v[156:159]// 000000007810: D3D7009C 0E73B532
	v_mfma_i32_16x16x32_i8 v[156:159], a[52:53], v[220:221], v[156:159]// 000000007818: D3D7009C 0E73B934
	v_mfma_i32_16x16x32_i8 v[156:159], a[54:55], v[222:223], v[156:159]// 000000007820: D3D7009C 0E73BD36
	v_mfma_i32_16x16x32_i8 v[156:159], a[56:57], v[224:225], v[156:159]// 000000007828: D3D7009C 0E73C138
	buffer_load_dwordx4 a[140:143], v37, s[92:95], 0 offen offset:3072// 000000007830: E05C1C00 80978C25
	v_mfma_i32_16x16x32_i8 v[156:159], a[58:59], v[226:227], v[156:159]// 000000007838: D3D7009C 0E73C53A
	v_mfma_i32_16x16x32_i8 v[156:159], a[60:61], v[228:229], v[156:159]// 000000007840: D3D7009C 0E73C93C
	v_mfma_i32_16x16x32_i8 v[156:159], a[62:63], v[230:231], v[156:159]// 000000007848: D3D7009C 0E73CD3E
	s_waitcnt vmcnt(24)                                        // 000000007850: BF8C4F78
	v_mfma_i32_16x16x32_i8 v[160:163], a[64:65], v[200:201], v[160:163]// 000000007854: D3D700A0 0E839140
	buffer_load_dwordx4 a[144:147], v38, s[92:95], 0 offen     // 00000000785C: E05C1000 80979026
	v_mfma_i32_16x16x32_i8 v[160:163], a[66:67], v[202:203], v[160:163]// 000000007864: D3D700A0 0E839542
	v_mfma_i32_16x16x32_i8 v[160:163], a[68:69], v[204:205], v[160:163]// 00000000786C: D3D700A0 0E839944
	v_mfma_i32_16x16x32_i8 v[160:163], a[70:71], v[206:207], v[160:163]// 000000007874: D3D700A0 0E839D46
	v_mfma_i32_16x16x32_i8 v[160:163], a[72:73], v[208:209], v[160:163]// 00000000787C: D3D700A0 0E83A148
	buffer_load_dwordx4 a[148:151], v38, s[92:95], 0 offen offset:1024// 000000007884: E05C1400 80979426
	v_mfma_i32_16x16x32_i8 v[160:163], a[74:75], v[210:211], v[160:163]// 00000000788C: D3D700A0 0E83A54A
	v_mfma_i32_16x16x32_i8 v[160:163], a[76:77], v[212:213], v[160:163]// 000000007894: D3D700A0 0E83A94C
	v_mfma_i32_16x16x32_i8 v[160:163], a[78:79], v[214:215], v[160:163]// 00000000789C: D3D700A0 0E83AD4E
	v_mfma_i32_16x16x32_i8 v[164:167], a[64:65], v[216:217], v[164:167]// 0000000078A4: D3D700A4 0E93B140
	buffer_load_dwordx4 a[152:155], v38, s[92:95], 0 offen offset:2048// 0000000078AC: E05C1800 80979826
	v_mfma_i32_16x16x32_i8 v[164:167], a[66:67], v[218:219], v[164:167]// 0000000078B4: D3D700A4 0E93B542
	v_mfma_i32_16x16x32_i8 v[164:167], a[68:69], v[220:221], v[164:167]// 0000000078BC: D3D700A4 0E93B944
	v_mfma_i32_16x16x32_i8 v[164:167], a[70:71], v[222:223], v[164:167]// 0000000078C4: D3D700A4 0E93BD46
	v_mfma_i32_16x16x32_i8 v[164:167], a[72:73], v[224:225], v[164:167]// 0000000078CC: D3D700A4 0E93C148
	buffer_load_dwordx4 a[156:159], v38, s[92:95], 0 offen offset:3072// 0000000078D4: E05C1C00 80979C26
	v_mfma_i32_16x16x32_i8 v[164:167], a[74:75], v[226:227], v[164:167]// 0000000078DC: D3D700A4 0E93C54A
	v_mfma_i32_16x16x32_i8 v[164:167], a[76:77], v[228:229], v[164:167]// 0000000078E4: D3D700A4 0E93C94C
	v_mfma_i32_16x16x32_i8 v[164:167], a[78:79], v[230:231], v[164:167]// 0000000078EC: D3D700A4 0E93CD4E
	s_waitcnt vmcnt(12)                                        // 0000000078F4: BF8C0F7C
	s_barrier                                                  // 0000000078F8: BF8A0000
	v_mfma_i32_16x16x32_i8 v[64:67], a[80:81], v[200:201], v[64:67]// 0000000078FC: D3D70040 0D039150
	buffer_load_dwordx4 a[0:3], v34, s[24:27], 0 offen         // 000000007904: E05C1000 80860022
	v_mfma_i32_16x16x32_i8 v[64:67], a[82:83], v[202:203], v[64:67]// 00000000790C: D3D70040 0D039552
	v_mfma_i32_16x16x32_i8 v[64:67], a[84:85], v[204:205], v[64:67]// 000000007914: D3D70040 0D039954
	v_mfma_i32_16x16x32_i8 v[64:67], a[86:87], v[206:207], v[64:67]// 00000000791C: D3D70040 0D039D56
	v_mfma_i32_16x16x32_i8 v[64:67], a[88:89], v[208:209], v[64:67]// 000000007924: D3D70040 0D03A158
	buffer_load_dwordx4 a[4:7], v34, s[24:27], 0 offen offset:1024// 00000000792C: E05C1400 80860422
	v_mfma_i32_16x16x32_i8 v[64:67], a[90:91], v[210:211], v[64:67]// 000000007934: D3D70040 0D03A55A
	v_mfma_i32_16x16x32_i8 v[64:67], a[92:93], v[212:213], v[64:67]// 00000000793C: D3D70040 0D03A95C
	v_mfma_i32_16x16x32_i8 v[64:67], a[94:95], v[214:215], v[64:67]// 000000007944: D3D70040 0D03AD5E
	v_mfma_i32_16x16x32_i8 v[68:71], a[80:81], v[216:217], v[68:71]// 00000000794C: D3D70044 0D13B150
	buffer_load_dwordx4 a[8:11], v34, s[24:27], 0 offen offset:2048// 000000007954: E05C1800 80860822
	v_mfma_i32_16x16x32_i8 v[68:71], a[82:83], v[218:219], v[68:71]// 00000000795C: D3D70044 0D13B552
	v_mfma_i32_16x16x32_i8 v[68:71], a[84:85], v[220:221], v[68:71]// 000000007964: D3D70044 0D13B954
	v_mfma_i32_16x16x32_i8 v[68:71], a[86:87], v[222:223], v[68:71]// 00000000796C: D3D70044 0D13BD56
	v_mfma_i32_16x16x32_i8 v[68:71], a[88:89], v[224:225], v[68:71]// 000000007974: D3D70044 0D13C158
	buffer_load_dwordx4 a[12:15], v34, s[24:27], 0 offen offset:3072// 00000000797C: E05C1C00 80860C22
	v_mfma_i32_16x16x32_i8 v[68:71], a[90:91], v[226:227], v[68:71]// 000000007984: D3D70044 0D13C55A
	v_mfma_i32_16x16x32_i8 v[68:71], a[92:93], v[228:229], v[68:71]// 00000000798C: D3D70044 0D13C95C
	v_mfma_i32_16x16x32_i8 v[68:71], a[94:95], v[230:231], v[68:71]// 000000007994: D3D70044 0D13CD5E
	v_mfma_i32_16x16x32_i8 v[72:75], a[96:97], v[200:201], v[72:75]// 00000000799C: D3D70048 0D239160
	buffer_load_dwordx4 a[16:19], v35, s[24:27], 0 offen       // 0000000079A4: E05C1000 80861023
	v_mfma_i32_16x16x32_i8 v[72:75], a[98:99], v[202:203], v[72:75]// 0000000079AC: D3D70048 0D239562
	v_mfma_i32_16x16x32_i8 v[72:75], a[100:101], v[204:205], v[72:75]// 0000000079B4: D3D70048 0D239964
	v_mfma_i32_16x16x32_i8 v[72:75], a[102:103], v[206:207], v[72:75]// 0000000079BC: D3D70048 0D239D66
	v_mfma_i32_16x16x32_i8 v[72:75], a[104:105], v[208:209], v[72:75]// 0000000079C4: D3D70048 0D23A168
	buffer_load_dwordx4 a[20:23], v35, s[24:27], 0 offen offset:1024// 0000000079CC: E05C1400 80861423
	v_mfma_i32_16x16x32_i8 v[72:75], a[106:107], v[210:211], v[72:75]// 0000000079D4: D3D70048 0D23A56A
	v_mfma_i32_16x16x32_i8 v[72:75], a[108:109], v[212:213], v[72:75]// 0000000079DC: D3D70048 0D23A96C
	v_mfma_i32_16x16x32_i8 v[72:75], a[110:111], v[214:215], v[72:75]// 0000000079E4: D3D70048 0D23AD6E
	v_mfma_i32_16x16x32_i8 v[76:79], a[96:97], v[216:217], v[76:79]// 0000000079EC: D3D7004C 0D33B160
	buffer_load_dwordx4 a[24:27], v35, s[24:27], 0 offen offset:2048// 0000000079F4: E05C1800 80861823
	v_mfma_i32_16x16x32_i8 v[76:79], a[98:99], v[218:219], v[76:79]// 0000000079FC: D3D7004C 0D33B562
	v_mfma_i32_16x16x32_i8 v[76:79], a[100:101], v[220:221], v[76:79]// 000000007A04: D3D7004C 0D33B964
	v_mfma_i32_16x16x32_i8 v[76:79], a[102:103], v[222:223], v[76:79]// 000000007A0C: D3D7004C 0D33BD66
	v_mfma_i32_16x16x32_i8 v[76:79], a[104:105], v[224:225], v[76:79]// 000000007A14: D3D7004C 0D33C168
	buffer_load_dwordx4 a[28:31], v35, s[24:27], 0 offen offset:3072// 000000007A1C: E05C1C00 80861C23
	v_mfma_i32_16x16x32_i8 v[76:79], a[106:107], v[226:227], v[76:79]// 000000007A24: D3D7004C 0D33C56A
	v_mfma_i32_16x16x32_i8 v[76:79], a[108:109], v[228:229], v[76:79]// 000000007A2C: D3D7004C 0D33C96C
	v_mfma_i32_16x16x32_i8 v[76:79], a[110:111], v[230:231], v[76:79]// 000000007A34: D3D7004C 0D33CD6E
	s_waitcnt vmcnt(16)                                        // 000000007A3C: BF8C4F70
	v_mfma_i32_16x16x32_i8 v[80:83], a[112:113], v[200:201], v[80:83]// 000000007A40: D3D70050 0D439170
	buffer_load_dwordx4 a[32:35], v36, s[24:27], 0 offen       // 000000007A48: E05C1000 80862024
	v_mfma_i32_16x16x32_i8 v[80:83], a[114:115], v[202:203], v[80:83]// 000000007A50: D3D70050 0D439572
	v_mfma_i32_16x16x32_i8 v[80:83], a[116:117], v[204:205], v[80:83]// 000000007A58: D3D70050 0D439974
	ds_read_b128 v[168:171], v2                                // 000000007A60: D9FE0000 A8000002
	v_mfma_i32_16x16x32_i8 v[80:83], a[118:119], v[206:207], v[80:83]// 000000007A68: D3D70050 0D439D76
	v_mfma_i32_16x16x32_i8 v[80:83], a[120:121], v[208:209], v[80:83]// 000000007A70: D3D70050 0D43A178
	buffer_load_dwordx4 a[36:39], v36, s[24:27], 0 offen offset:1024// 000000007A78: E05C1400 80862424
	v_mfma_i32_16x16x32_i8 v[80:83], a[122:123], v[210:211], v[80:83]// 000000007A80: D3D70050 0D43A57A
	v_mfma_i32_16x16x32_i8 v[80:83], a[124:125], v[212:213], v[80:83]// 000000007A88: D3D70050 0D43A97C
	ds_read_b128 v[172:175], v2 offset:64                      // 000000007A90: D9FE0040 AC000002
	v_mfma_i32_16x16x32_i8 v[80:83], a[126:127], v[214:215], v[80:83]// 000000007A98: D3D70050 0D43AD7E
	v_mfma_i32_16x16x32_i8 v[84:87], a[112:113], v[216:217], v[84:87]// 000000007AA0: D3D70054 0D53B170
	buffer_load_dwordx4 a[40:43], v36, s[24:27], 0 offen offset:2048// 000000007AA8: E05C1800 80862824
	v_mfma_i32_16x16x32_i8 v[84:87], a[114:115], v[218:219], v[84:87]// 000000007AB0: D3D70054 0D53B572
	v_mfma_i32_16x16x32_i8 v[84:87], a[116:117], v[220:221], v[84:87]// 000000007AB8: D3D70054 0D53B974
	ds_read_b128 v[176:179], v2 offset:128                     // 000000007AC0: D9FE0080 B0000002
	v_mfma_i32_16x16x32_i8 v[84:87], a[118:119], v[222:223], v[84:87]// 000000007AC8: D3D70054 0D53BD76
	v_mfma_i32_16x16x32_i8 v[84:87], a[120:121], v[224:225], v[84:87]// 000000007AD0: D3D70054 0D53C178
	buffer_load_dwordx4 a[44:47], v36, s[24:27], 0 offen offset:3072// 000000007AD8: E05C1C00 80862C24
	v_mfma_i32_16x16x32_i8 v[84:87], a[122:123], v[226:227], v[84:87]// 000000007AE0: D3D70054 0D53C57A
	v_mfma_i32_16x16x32_i8 v[84:87], a[124:125], v[228:229], v[84:87]// 000000007AE8: D3D70054 0D53C97C
	ds_read_b128 v[180:183], v2 offset:192                     // 000000007AF0: D9FE00C0 B4000002
	v_mfma_i32_16x16x32_i8 v[84:87], a[126:127], v[230:231], v[84:87]// 000000007AF8: D3D70054 0D53CD7E
	s_waitcnt vmcnt(16)                                        // 000000007B00: BF8C4F70
	v_mfma_i32_16x16x32_i8 v[88:91], a[128:129], v[200:201], v[88:91]// 000000007B04: D3D70058 0D639180
	buffer_load_dwordx4 a[48:51], v37, s[24:27], 0 offen       // 000000007B0C: E05C1000 80863025
	v_mfma_i32_16x16x32_i8 v[88:91], a[130:131], v[202:203], v[88:91]// 000000007B14: D3D70058 0D639582
	v_mfma_i32_16x16x32_i8 v[88:91], a[132:133], v[204:205], v[88:91]// 000000007B1C: D3D70058 0D639984
	ds_read_b128 v[184:187], v2 offset:1024                    // 000000007B24: D9FE0400 B8000002
	v_mfma_i32_16x16x32_i8 v[88:91], a[134:135], v[206:207], v[88:91]// 000000007B2C: D3D70058 0D639D86
	v_mfma_i32_16x16x32_i8 v[88:91], a[136:137], v[208:209], v[88:91]// 000000007B34: D3D70058 0D63A188
	buffer_load_dwordx4 a[52:55], v37, s[24:27], 0 offen offset:1024// 000000007B3C: E05C1400 80863425
	v_mfma_i32_16x16x32_i8 v[88:91], a[138:139], v[210:211], v[88:91]// 000000007B44: D3D70058 0D63A58A
	v_mfma_i32_16x16x32_i8 v[88:91], a[140:141], v[212:213], v[88:91]// 000000007B4C: D3D70058 0D63A98C
	ds_read_b128 v[188:191], v2 offset:1088                    // 000000007B54: D9FE0440 BC000002
	v_mfma_i32_16x16x32_i8 v[88:91], a[142:143], v[214:215], v[88:91]// 000000007B5C: D3D70058 0D63AD8E
	v_mfma_i32_16x16x32_i8 v[92:95], a[128:129], v[216:217], v[92:95]// 000000007B64: D3D7005C 0D73B180
	buffer_load_dwordx4 a[56:59], v37, s[24:27], 0 offen offset:2048// 000000007B6C: E05C1800 80863825
	v_mfma_i32_16x16x32_i8 v[92:95], a[130:131], v[218:219], v[92:95]// 000000007B74: D3D7005C 0D73B582
	v_mfma_i32_16x16x32_i8 v[92:95], a[132:133], v[220:221], v[92:95]// 000000007B7C: D3D7005C 0D73B984
	ds_read_b128 v[192:195], v2 offset:1152                    // 000000007B84: D9FE0480 C0000002
	v_mfma_i32_16x16x32_i8 v[92:95], a[134:135], v[222:223], v[92:95]// 000000007B8C: D3D7005C 0D73BD86
	v_mfma_i32_16x16x32_i8 v[92:95], a[136:137], v[224:225], v[92:95]// 000000007B94: D3D7005C 0D73C188
	buffer_load_dwordx4 a[60:63], v37, s[24:27], 0 offen offset:3072// 000000007B9C: E05C1C00 80863C25
	v_mfma_i32_16x16x32_i8 v[92:95], a[138:139], v[226:227], v[92:95]// 000000007BA4: D3D7005C 0D73C58A
	v_mfma_i32_16x16x32_i8 v[92:95], a[140:141], v[228:229], v[92:95]// 000000007BAC: D3D7005C 0D73C98C
	ds_read_b128 v[196:199], v2 offset:1216                    // 000000007BB4: D9FE04C0 C4000002
	v_mfma_i32_16x16x32_i8 v[92:95], a[142:143], v[230:231], v[92:95]// 000000007BBC: D3D7005C 0D73CD8E
	s_waitcnt vmcnt(16)                                        // 000000007BC4: BF8C4F70
	v_mfma_i32_16x16x32_i8 v[96:99], a[144:145], v[200:201], v[96:99]// 000000007BC8: D3D70060 0D839190
	buffer_load_dwordx4 a[64:67], v38, s[24:27], 0 offen       // 000000007BD0: E05C1000 80864026
	v_mfma_i32_16x16x32_i8 v[96:99], a[146:147], v[202:203], v[96:99]// 000000007BD8: D3D70060 0D839592
	v_mfma_i32_16x16x32_i8 v[96:99], a[148:149], v[204:205], v[96:99]// 000000007BE0: D3D70060 0D839994
	v_mfma_i32_16x16x32_i8 v[96:99], a[150:151], v[206:207], v[96:99]// 000000007BE8: D3D70060 0D839D96
	v_mfma_i32_16x16x32_i8 v[96:99], a[152:153], v[208:209], v[96:99]// 000000007BF0: D3D70060 0D83A198
	buffer_load_dwordx4 a[68:71], v38, s[24:27], 0 offen offset:1024// 000000007BF8: E05C1400 80864426
	v_mfma_i32_16x16x32_i8 v[96:99], a[154:155], v[210:211], v[96:99]// 000000007C00: D3D70060 0D83A59A
	v_mfma_i32_16x16x32_i8 v[96:99], a[156:157], v[212:213], v[96:99]// 000000007C08: D3D70060 0D83A99C
	v_mfma_i32_16x16x32_i8 v[96:99], a[158:159], v[214:215], v[96:99]// 000000007C10: D3D70060 0D83AD9E
	v_mfma_i32_16x16x32_i8 v[100:103], a[144:145], v[216:217], v[100:103]// 000000007C18: D3D70064 0D93B190
	buffer_load_dwordx4 a[72:75], v38, s[24:27], 0 offen offset:2048// 000000007C20: E05C1800 80864826
	v_mfma_i32_16x16x32_i8 v[100:103], a[146:147], v[218:219], v[100:103]// 000000007C28: D3D70064 0D93B592
	v_mfma_i32_16x16x32_i8 v[100:103], a[148:149], v[220:221], v[100:103]// 000000007C30: D3D70064 0D93B994
	v_mfma_i32_16x16x32_i8 v[100:103], a[150:151], v[222:223], v[100:103]// 000000007C38: D3D70064 0D93BD96
	v_mfma_i32_16x16x32_i8 v[100:103], a[152:153], v[224:225], v[100:103]// 000000007C40: D3D70064 0D93C198
	buffer_load_dwordx4 a[76:79], v38, s[24:27], 0 offen offset:3072// 000000007C48: E05C1C00 80864C26
	v_mfma_i32_16x16x32_i8 v[100:103], a[154:155], v[226:227], v[100:103]// 000000007C50: D3D70064 0D93C59A
	v_mfma_i32_16x16x32_i8 v[100:103], a[156:157], v[228:229], v[100:103]// 000000007C58: D3D70064 0D93C99C
	v_mfma_i32_16x16x32_i8 v[100:103], a[158:159], v[230:231], v[100:103]// 000000007C60: D3D70064 0D93CD9E
	s_add_u32 s60, 0x200, s80                                  // 000000007C68: 803C50FF 00000200
	s_cmp_lt_u32 s60, s81                                      // 000000007C70: BF0A513C
	s_cselect_b32 s57, s57, 0                                  // 000000007C74: 85398039
	s_add_u32 s60, 0x200, s80                                  // 000000007C78: 803C50FF 00000200
	s_cmp_lt_u32 s60, s81                                      // 000000007C80: BF0A513C
	s_cselect_b32 s58, s58, 0                                  // 000000007C84: 853A803A
	s_add_u32 s20, s57, s20                                    // 000000007C88: 80141439
	s_addc_u32 s21, 0, s21                                     // 000000007C8C: 82151580
	s_add_u32 s24, s58, s24                                    // 000000007C90: 8018183A
	s_addc_u32 s25, 0, s25                                     // 000000007C94: 82191980
	s_add_u32 s92, s90, s92                                    // 000000007C98: 805C5C5A
	s_addc_u32 s93, 0, s93                                     // 000000007C9C: 825D5D80
	s_addk_i32 s80, 0x100                                      // 000000007CA0: B7500100
	s_cmp_lt_i32 s80, s81                                      // 000000007CA4: BF045150
	s_cbranch_scc0 label_146C                                  // 000000007CA8: BF840001
	s_branch label_10B7                                        // 000000007CAC: BF82FC4B

0000000000007cb0 <label_146C>:
	s_mov_b32 s36, -1                                          // 000000007CB0: BEA400C1
	s_mov_b32 s37, -1                                          // 000000007CB4: BEA500C1
	s_mov_b64 s[60:61], 0                                      // 000000007CB8: BEBC0180
	s_cmp_lt_u32 s82, s66                                      // 000000007CBC: BF0A4252
	s_cselect_b64 s[20:21], s[36:37], s[60:61]                 // 000000007CC0: 85943C24
	s_cmp_lt_u32 s83, s66                                      // 000000007CC4: BF0A4253
	s_cselect_b64 s[22:23], s[36:37], s[60:61]                 // 000000007CC8: 85963C24
	s_cmp_lt_u32 s84, s66                                      // 000000007CCC: BF0A4254
	s_cselect_b64 s[24:25], s[36:37], s[60:61]                 // 000000007CD0: 85983C24
	s_cmp_lt_u32 s85, s66                                      // 000000007CD4: BF0A4255
	s_cselect_b64 s[26:27], s[36:37], s[60:61]                 // 000000007CD8: 859A3C24
	s_cmp_lt_u32 s86, s66                                      // 000000007CDC: BF0A4256
	s_cselect_b64 s[28:29], s[36:37], s[60:61]                 // 000000007CE0: 859C3C24
	s_cmp_lt_u32 s87, s66                                      // 000000007CE4: BF0A4257
	s_cselect_b64 s[30:31], s[36:37], s[60:61]                 // 000000007CE8: 859E3C24
	s_cmp_lt_u32 s88, s66                                      // 000000007CEC: BF0A4258
	s_cselect_b64 s[32:33], s[36:37], s[60:61]                 // 000000007CF0: 85A03C24
	s_cmp_lt_u32 s89, s66                                      // 000000007CF4: BF0A4259
	s_cselect_b64 s[34:35], s[36:37], s[60:61]                 // 000000007CF8: 85A23C24
	v_cvt_f32_i32_e32 v128, v128                               // 000000007CFC: 7F000B80
	v_cvt_f32_i32_e32 v129, v129                               // 000000007D00: 7F020B81
	v_cvt_f32_i32_e32 v130, v130                               // 000000007D04: 7F040B82
	v_cvt_f32_i32_e32 v131, v131                               // 000000007D08: 7F060B83
	v_mul_f32_e32 v128, v14, v128                              // 000000007D0C: 0B01010E
	v_mul_f32_e32 v129, v14, v129                              // 000000007D10: 0B03030E
	v_mul_f32_e32 v130, v14, v130                              // 000000007D14: 0B05050E
	v_mul_f32_e32 v131, v14, v131                              // 000000007D18: 0B07070E
	v_mul_f32_dpp v128, v16, v128 row_newbcast:0 row_mask:0xf bank_mask:0xf// 000000007D1C: 0B0100FA FF015010
	v_mul_f32_dpp v129, v16, v129 row_newbcast:1 row_mask:0xf bank_mask:0xf// 000000007D24: 0B0302FA FF015110
	v_mul_f32_dpp v130, v16, v130 row_newbcast:2 row_mask:0xf bank_mask:0xf// 000000007D2C: 0B0504FA FF015210
	v_mul_f32_dpp v131, v16, v131 row_newbcast:3 row_mask:0xf bank_mask:0xf// 000000007D34: 0B0706FA FF015310
	v_cvt_f32_i32_e32 v132, v132                               // 000000007D3C: 7F080B84
	v_cvt_f32_i32_e32 v133, v133                               // 000000007D40: 7F0A0B85
	v_cvt_f32_i32_e32 v134, v134                               // 000000007D44: 7F0C0B86
	v_cvt_f32_i32_e32 v135, v135                               // 000000007D48: 7F0E0B87
	v_mul_f32_e32 v132, v15, v132                              // 000000007D4C: 0B09090F
	v_mul_f32_e32 v133, v15, v133                              // 000000007D50: 0B0B0B0F
	v_mul_f32_e32 v134, v15, v134                              // 000000007D54: 0B0D0D0F
	v_mul_f32_e32 v135, v15, v135                              // 000000007D58: 0B0F0F0F
	v_mul_f32_dpp v132, v16, v132 row_newbcast:0 row_mask:0xf bank_mask:0xf// 000000007D5C: 0B0908FA FF015010
	v_mul_f32_dpp v133, v16, v133 row_newbcast:1 row_mask:0xf bank_mask:0xf// 000000007D64: 0B0B0AFA FF015110
	v_mul_f32_dpp v134, v16, v134 row_newbcast:2 row_mask:0xf bank_mask:0xf// 000000007D6C: 0B0D0CFA FF015210
	v_mul_f32_dpp v135, v16, v135 row_newbcast:3 row_mask:0xf bank_mask:0xf// 000000007D74: 0B0F0EFA FF015310
	v_cvt_f32_i32_e32 v136, v136                               // 000000007D7C: 7F100B88
	v_cvt_f32_i32_e32 v137, v137                               // 000000007D80: 7F120B89
	v_cvt_f32_i32_e32 v138, v138                               // 000000007D84: 7F140B8A
	v_cvt_f32_i32_e32 v139, v139                               // 000000007D88: 7F160B8B
	v_mul_f32_e32 v136, v14, v136                              // 000000007D8C: 0B11110E
	v_mul_f32_e32 v137, v14, v137                              // 000000007D90: 0B13130E
	v_mul_f32_e32 v138, v14, v138                              // 000000007D94: 0B15150E
	v_mul_f32_e32 v139, v14, v139                              // 000000007D98: 0B17170E
	v_mul_f32_dpp v136, v16, v136 row_newbcast:4 row_mask:0xf bank_mask:0xf// 000000007D9C: 0B1110FA FF015410
	v_mul_f32_dpp v137, v16, v137 row_newbcast:5 row_mask:0xf bank_mask:0xf// 000000007DA4: 0B1312FA FF015510
	v_mul_f32_dpp v138, v16, v138 row_newbcast:6 row_mask:0xf bank_mask:0xf// 000000007DAC: 0B1514FA FF015610
	v_mul_f32_dpp v139, v16, v139 row_newbcast:7 row_mask:0xf bank_mask:0xf// 000000007DB4: 0B1716FA FF015710
	v_cvt_f32_i32_e32 v140, v140                               // 000000007DBC: 7F180B8C
	v_cvt_f32_i32_e32 v141, v141                               // 000000007DC0: 7F1A0B8D
	v_cvt_f32_i32_e32 v142, v142                               // 000000007DC4: 7F1C0B8E
	v_cvt_f32_i32_e32 v143, v143                               // 000000007DC8: 7F1E0B8F
	v_mul_f32_e32 v140, v15, v140                              // 000000007DCC: 0B19190F
	v_mul_f32_e32 v141, v15, v141                              // 000000007DD0: 0B1B1B0F
	v_mul_f32_e32 v142, v15, v142                              // 000000007DD4: 0B1D1D0F
	v_mul_f32_e32 v143, v15, v143                              // 000000007DD8: 0B1F1F0F
	v_mul_f32_dpp v140, v16, v140 row_newbcast:4 row_mask:0xf bank_mask:0xf// 000000007DDC: 0B1918FA FF015410
	v_mul_f32_dpp v141, v16, v141 row_newbcast:5 row_mask:0xf bank_mask:0xf// 000000007DE4: 0B1B1AFA FF015510
	v_mul_f32_dpp v142, v16, v142 row_newbcast:6 row_mask:0xf bank_mask:0xf// 000000007DEC: 0B1D1CFA FF015610
	v_mul_f32_dpp v143, v16, v143 row_newbcast:7 row_mask:0xf bank_mask:0xf// 000000007DF4: 0B1F1EFA FF015710
	v_cvt_f32_i32_e32 v144, v144                               // 000000007DFC: 7F200B90
	v_cvt_f32_i32_e32 v145, v145                               // 000000007E00: 7F220B91
	v_cvt_f32_i32_e32 v146, v146                               // 000000007E04: 7F240B92
	v_cvt_f32_i32_e32 v147, v147                               // 000000007E08: 7F260B93
	v_mul_f32_e32 v144, v14, v144                              // 000000007E0C: 0B21210E
	v_mul_f32_e32 v145, v14, v145                              // 000000007E10: 0B23230E
	v_mul_f32_e32 v146, v14, v146                              // 000000007E14: 0B25250E
	v_mul_f32_e32 v147, v14, v147                              // 000000007E18: 0B27270E
	v_mul_f32_dpp v144, v16, v144 row_newbcast:8 row_mask:0xf bank_mask:0xf// 000000007E1C: 0B2120FA FF015810
	v_mul_f32_dpp v145, v16, v145 row_newbcast:9 row_mask:0xf bank_mask:0xf// 000000007E24: 0B2322FA FF015910
	v_mul_f32_dpp v146, v16, v146 row_newbcast:10 row_mask:0xf bank_mask:0xf// 000000007E2C: 0B2524FA FF015A10
	v_mul_f32_dpp v147, v16, v147 row_newbcast:11 row_mask:0xf bank_mask:0xf// 000000007E34: 0B2726FA FF015B10
	v_cvt_f32_i32_e32 v148, v148                               // 000000007E3C: 7F280B94
	v_cvt_f32_i32_e32 v149, v149                               // 000000007E40: 7F2A0B95
	v_cvt_f32_i32_e32 v150, v150                               // 000000007E44: 7F2C0B96
	v_cvt_f32_i32_e32 v151, v151                               // 000000007E48: 7F2E0B97
	v_mul_f32_e32 v148, v15, v148                              // 000000007E4C: 0B29290F
	v_mul_f32_e32 v149, v15, v149                              // 000000007E50: 0B2B2B0F
	v_mul_f32_e32 v150, v15, v150                              // 000000007E54: 0B2D2D0F
	v_mul_f32_e32 v151, v15, v151                              // 000000007E58: 0B2F2F0F
	v_mul_f32_dpp v148, v16, v148 row_newbcast:8 row_mask:0xf bank_mask:0xf// 000000007E5C: 0B2928FA FF015810
	v_mul_f32_dpp v149, v16, v149 row_newbcast:9 row_mask:0xf bank_mask:0xf// 000000007E64: 0B2B2AFA FF015910
	v_mul_f32_dpp v150, v16, v150 row_newbcast:10 row_mask:0xf bank_mask:0xf// 000000007E6C: 0B2D2CFA FF015A10
	v_mul_f32_dpp v151, v16, v151 row_newbcast:11 row_mask:0xf bank_mask:0xf// 000000007E74: 0B2F2EFA FF015B10
	v_cvt_f32_i32_e32 v152, v152                               // 000000007E7C: 7F300B98
	v_cvt_f32_i32_e32 v153, v153                               // 000000007E80: 7F320B99
	v_cvt_f32_i32_e32 v154, v154                               // 000000007E84: 7F340B9A
	v_cvt_f32_i32_e32 v155, v155                               // 000000007E88: 7F360B9B
	v_mul_f32_e32 v152, v14, v152                              // 000000007E8C: 0B31310E
	v_mul_f32_e32 v153, v14, v153                              // 000000007E90: 0B33330E
	v_mul_f32_e32 v154, v14, v154                              // 000000007E94: 0B35350E
	v_mul_f32_e32 v155, v14, v155                              // 000000007E98: 0B37370E
	v_mul_f32_dpp v152, v16, v152 row_newbcast:12 row_mask:0xf bank_mask:0xf// 000000007E9C: 0B3130FA FF015C10
	v_mul_f32_dpp v153, v16, v153 row_newbcast:13 row_mask:0xf bank_mask:0xf// 000000007EA4: 0B3332FA FF015D10
	v_mul_f32_dpp v154, v16, v154 row_newbcast:14 row_mask:0xf bank_mask:0xf// 000000007EAC: 0B3534FA FF015E10
	v_mul_f32_dpp v155, v16, v155 row_newbcast:15 row_mask:0xf bank_mask:0xf// 000000007EB4: 0B3736FA FF015F10
	v_cvt_f32_i32_e32 v156, v156                               // 000000007EBC: 7F380B9C
	v_cvt_f32_i32_e32 v157, v157                               // 000000007EC0: 7F3A0B9D
	v_cvt_f32_i32_e32 v158, v158                               // 000000007EC4: 7F3C0B9E
	v_cvt_f32_i32_e32 v159, v159                               // 000000007EC8: 7F3E0B9F
	v_mul_f32_e32 v156, v15, v156                              // 000000007ECC: 0B39390F
	v_mul_f32_e32 v157, v15, v157                              // 000000007ED0: 0B3B3B0F
	v_mul_f32_e32 v158, v15, v158                              // 000000007ED4: 0B3D3D0F
	v_mul_f32_e32 v159, v15, v159                              // 000000007ED8: 0B3F3F0F
	v_mul_f32_dpp v156, v16, v156 row_newbcast:12 row_mask:0xf bank_mask:0xf// 000000007EDC: 0B3938FA FF015C10
	v_mul_f32_dpp v157, v16, v157 row_newbcast:13 row_mask:0xf bank_mask:0xf// 000000007EE4: 0B3B3AFA FF015D10
	v_mul_f32_dpp v158, v16, v158 row_newbcast:14 row_mask:0xf bank_mask:0xf// 000000007EEC: 0B3D3CFA FF015E10
	v_mul_f32_dpp v159, v16, v159 row_newbcast:15 row_mask:0xf bank_mask:0xf// 000000007EF4: 0B3F3EFA FF015F10
	v_cvt_f32_i32_e32 v160, v160                               // 000000007EFC: 7F400BA0
	v_cvt_f32_i32_e32 v161, v161                               // 000000007F00: 7F420BA1
	v_cvt_f32_i32_e32 v162, v162                               // 000000007F04: 7F440BA2
	v_cvt_f32_i32_e32 v163, v163                               // 000000007F08: 7F460BA3
	v_mul_f32_e32 v160, v14, v160                              // 000000007F0C: 0B41410E
	v_mul_f32_e32 v161, v14, v161                              // 000000007F10: 0B43430E
	v_mul_f32_e32 v162, v14, v162                              // 000000007F14: 0B45450E
	v_mul_f32_e32 v163, v14, v163                              // 000000007F18: 0B47470E
	v_mul_f32_dpp v160, v17, v160 row_newbcast:0 row_mask:0xf bank_mask:0xf// 000000007F1C: 0B4140FA FF015011
	v_mul_f32_dpp v161, v17, v161 row_newbcast:1 row_mask:0xf bank_mask:0xf// 000000007F24: 0B4342FA FF015111
	v_mul_f32_dpp v162, v17, v162 row_newbcast:2 row_mask:0xf bank_mask:0xf// 000000007F2C: 0B4544FA FF015211
	v_mul_f32_dpp v163, v17, v163 row_newbcast:3 row_mask:0xf bank_mask:0xf// 000000007F34: 0B4746FA FF015311
	v_cvt_f32_i32_e32 v164, v164                               // 000000007F3C: 7F480BA4
	v_cvt_f32_i32_e32 v165, v165                               // 000000007F40: 7F4A0BA5
	v_cvt_f32_i32_e32 v166, v166                               // 000000007F44: 7F4C0BA6
	v_cvt_f32_i32_e32 v167, v167                               // 000000007F48: 7F4E0BA7
	v_mul_f32_e32 v164, v15, v164                              // 000000007F4C: 0B49490F
	v_mul_f32_e32 v165, v15, v165                              // 000000007F50: 0B4B4B0F
	v_mul_f32_e32 v166, v15, v166                              // 000000007F54: 0B4D4D0F
	v_mul_f32_e32 v167, v15, v167                              // 000000007F58: 0B4F4F0F
	v_mul_f32_dpp v164, v17, v164 row_newbcast:0 row_mask:0xf bank_mask:0xf// 000000007F5C: 0B4948FA FF015011
	v_mul_f32_dpp v165, v17, v165 row_newbcast:1 row_mask:0xf bank_mask:0xf// 000000007F64: 0B4B4AFA FF015111
	v_mul_f32_dpp v166, v17, v166 row_newbcast:2 row_mask:0xf bank_mask:0xf// 000000007F6C: 0B4D4CFA FF015211
	v_mul_f32_dpp v167, v17, v167 row_newbcast:3 row_mask:0xf bank_mask:0xf// 000000007F74: 0B4F4EFA FF015311
	v_cvt_f32_i32_e32 v64, v64                                 // 000000007F7C: 7E800B40
	v_cvt_f32_i32_e32 v65, v65                                 // 000000007F80: 7E820B41
	v_cvt_f32_i32_e32 v66, v66                                 // 000000007F84: 7E840B42
	v_cvt_f32_i32_e32 v67, v67                                 // 000000007F88: 7E860B43
	v_mul_f32_e32 v64, v14, v64                                // 000000007F8C: 0A80810E
	v_mul_f32_e32 v65, v14, v65                                // 000000007F90: 0A82830E
	v_mul_f32_e32 v66, v14, v66                                // 000000007F94: 0A84850E
	v_mul_f32_e32 v67, v14, v67                                // 000000007F98: 0A86870E
	v_mul_f32_dpp v64, v47, v64 row_newbcast:0 row_mask:0xf bank_mask:0xf// 000000007F9C: 0A8080FA FF01502F
	v_mul_f32_dpp v65, v47, v65 row_newbcast:1 row_mask:0xf bank_mask:0xf// 000000007FA4: 0A8282FA FF01512F
	v_mul_f32_dpp v66, v47, v66 row_newbcast:2 row_mask:0xf bank_mask:0xf// 000000007FAC: 0A8484FA FF01522F
	v_mul_f32_dpp v67, v47, v67 row_newbcast:3 row_mask:0xf bank_mask:0xf// 000000007FB4: 0A8686FA FF01532F
	v_cvt_f32_i32_e32 v68, v68                                 // 000000007FBC: 7E880B44
	v_cvt_f32_i32_e32 v69, v69                                 // 000000007FC0: 7E8A0B45
	v_cvt_f32_i32_e32 v70, v70                                 // 000000007FC4: 7E8C0B46
	v_cvt_f32_i32_e32 v71, v71                                 // 000000007FC8: 7E8E0B47
	v_mul_f32_e32 v68, v15, v68                                // 000000007FCC: 0A88890F
	v_mul_f32_e32 v69, v15, v69                                // 000000007FD0: 0A8A8B0F
	v_mul_f32_e32 v70, v15, v70                                // 000000007FD4: 0A8C8D0F
	v_mul_f32_e32 v71, v15, v71                                // 000000007FD8: 0A8E8F0F
	v_mul_f32_dpp v68, v47, v68 row_newbcast:0 row_mask:0xf bank_mask:0xf// 000000007FDC: 0A8888FA FF01502F
	v_mul_f32_dpp v69, v47, v69 row_newbcast:1 row_mask:0xf bank_mask:0xf// 000000007FE4: 0A8A8AFA FF01512F
	v_mul_f32_dpp v70, v47, v70 row_newbcast:2 row_mask:0xf bank_mask:0xf// 000000007FEC: 0A8C8CFA FF01522F
	v_mul_f32_dpp v71, v47, v71 row_newbcast:3 row_mask:0xf bank_mask:0xf// 000000007FF4: 0A8E8EFA FF01532F
	v_cvt_f32_i32_e32 v72, v72                                 // 000000007FFC: 7E900B48
	v_cvt_f32_i32_e32 v73, v73                                 // 000000008000: 7E920B49
	v_cvt_f32_i32_e32 v74, v74                                 // 000000008004: 7E940B4A
	v_cvt_f32_i32_e32 v75, v75                                 // 000000008008: 7E960B4B
	v_mul_f32_e32 v72, v14, v72                                // 00000000800C: 0A90910E
	v_mul_f32_e32 v73, v14, v73                                // 000000008010: 0A92930E
	v_mul_f32_e32 v74, v14, v74                                // 000000008014: 0A94950E
	v_mul_f32_e32 v75, v14, v75                                // 000000008018: 0A96970E
	v_mul_f32_dpp v72, v47, v72 row_newbcast:4 row_mask:0xf bank_mask:0xf// 00000000801C: 0A9090FA FF01542F
	v_mul_f32_dpp v73, v47, v73 row_newbcast:5 row_mask:0xf bank_mask:0xf// 000000008024: 0A9292FA FF01552F
	v_mul_f32_dpp v74, v47, v74 row_newbcast:6 row_mask:0xf bank_mask:0xf// 00000000802C: 0A9494FA FF01562F
	v_mul_f32_dpp v75, v47, v75 row_newbcast:7 row_mask:0xf bank_mask:0xf// 000000008034: 0A9696FA FF01572F
	v_cvt_f32_i32_e32 v76, v76                                 // 00000000803C: 7E980B4C
	v_cvt_f32_i32_e32 v77, v77                                 // 000000008040: 7E9A0B4D
	v_cvt_f32_i32_e32 v78, v78                                 // 000000008044: 7E9C0B4E
	v_cvt_f32_i32_e32 v79, v79                                 // 000000008048: 7E9E0B4F
	v_mul_f32_e32 v76, v15, v76                                // 00000000804C: 0A98990F
	v_mul_f32_e32 v77, v15, v77                                // 000000008050: 0A9A9B0F
	v_mul_f32_e32 v78, v15, v78                                // 000000008054: 0A9C9D0F
	v_mul_f32_e32 v79, v15, v79                                // 000000008058: 0A9E9F0F
	v_mul_f32_dpp v76, v47, v76 row_newbcast:4 row_mask:0xf bank_mask:0xf// 00000000805C: 0A9898FA FF01542F
	v_mul_f32_dpp v77, v47, v77 row_newbcast:5 row_mask:0xf bank_mask:0xf// 000000008064: 0A9A9AFA FF01552F
	v_mul_f32_dpp v78, v47, v78 row_newbcast:6 row_mask:0xf bank_mask:0xf// 00000000806C: 0A9C9CFA FF01562F
	v_mul_f32_dpp v79, v47, v79 row_newbcast:7 row_mask:0xf bank_mask:0xf// 000000008074: 0A9E9EFA FF01572F
	v_cvt_f32_i32_e32 v80, v80                                 // 00000000807C: 7EA00B50
	v_cvt_f32_i32_e32 v81, v81                                 // 000000008080: 7EA20B51
	v_cvt_f32_i32_e32 v82, v82                                 // 000000008084: 7EA40B52
	v_cvt_f32_i32_e32 v83, v83                                 // 000000008088: 7EA60B53
	v_mul_f32_e32 v80, v14, v80                                // 00000000808C: 0AA0A10E
	v_mul_f32_e32 v81, v14, v81                                // 000000008090: 0AA2A30E
	v_mul_f32_e32 v82, v14, v82                                // 000000008094: 0AA4A50E
	v_mul_f32_e32 v83, v14, v83                                // 000000008098: 0AA6A70E
	v_mul_f32_dpp v80, v47, v80 row_newbcast:8 row_mask:0xf bank_mask:0xf// 00000000809C: 0AA0A0FA FF01582F
	v_mul_f32_dpp v81, v47, v81 row_newbcast:9 row_mask:0xf bank_mask:0xf// 0000000080A4: 0AA2A2FA FF01592F
	v_mul_f32_dpp v82, v47, v82 row_newbcast:10 row_mask:0xf bank_mask:0xf// 0000000080AC: 0AA4A4FA FF015A2F
	v_mul_f32_dpp v83, v47, v83 row_newbcast:11 row_mask:0xf bank_mask:0xf// 0000000080B4: 0AA6A6FA FF015B2F
	v_cvt_f32_i32_e32 v84, v84                                 // 0000000080BC: 7EA80B54
	v_cvt_f32_i32_e32 v85, v85                                 // 0000000080C0: 7EAA0B55
	v_cvt_f32_i32_e32 v86, v86                                 // 0000000080C4: 7EAC0B56
	v_cvt_f32_i32_e32 v87, v87                                 // 0000000080C8: 7EAE0B57
	v_mul_f32_e32 v84, v15, v84                                // 0000000080CC: 0AA8A90F
	v_mul_f32_e32 v85, v15, v85                                // 0000000080D0: 0AAAAB0F
	v_mul_f32_e32 v86, v15, v86                                // 0000000080D4: 0AACAD0F
	v_mul_f32_e32 v87, v15, v87                                // 0000000080D8: 0AAEAF0F
	v_mul_f32_dpp v84, v47, v84 row_newbcast:8 row_mask:0xf bank_mask:0xf// 0000000080DC: 0AA8A8FA FF01582F
	v_mul_f32_dpp v85, v47, v85 row_newbcast:9 row_mask:0xf bank_mask:0xf// 0000000080E4: 0AAAAAFA FF01592F
	v_mul_f32_dpp v86, v47, v86 row_newbcast:10 row_mask:0xf bank_mask:0xf// 0000000080EC: 0AACACFA FF015A2F
	v_mul_f32_dpp v87, v47, v87 row_newbcast:11 row_mask:0xf bank_mask:0xf// 0000000080F4: 0AAEAEFA FF015B2F
	v_cvt_f32_i32_e32 v88, v88                                 // 0000000080FC: 7EB00B58
	v_cvt_f32_i32_e32 v89, v89                                 // 000000008100: 7EB20B59
	v_cvt_f32_i32_e32 v90, v90                                 // 000000008104: 7EB40B5A
	v_cvt_f32_i32_e32 v91, v91                                 // 000000008108: 7EB60B5B
	v_mul_f32_e32 v88, v14, v88                                // 00000000810C: 0AB0B10E
	v_mul_f32_e32 v89, v14, v89                                // 000000008110: 0AB2B30E
	v_mul_f32_e32 v90, v14, v90                                // 000000008114: 0AB4B50E
	v_mul_f32_e32 v91, v14, v91                                // 000000008118: 0AB6B70E
	v_mul_f32_dpp v88, v47, v88 row_newbcast:12 row_mask:0xf bank_mask:0xf// 00000000811C: 0AB0B0FA FF015C2F
	v_mul_f32_dpp v89, v47, v89 row_newbcast:13 row_mask:0xf bank_mask:0xf// 000000008124: 0AB2B2FA FF015D2F
	v_mul_f32_dpp v90, v47, v90 row_newbcast:14 row_mask:0xf bank_mask:0xf// 00000000812C: 0AB4B4FA FF015E2F
	v_mul_f32_dpp v91, v47, v91 row_newbcast:15 row_mask:0xf bank_mask:0xf// 000000008134: 0AB6B6FA FF015F2F
	v_cvt_f32_i32_e32 v92, v92                                 // 00000000813C: 7EB80B5C
	v_cvt_f32_i32_e32 v93, v93                                 // 000000008140: 7EBA0B5D
	v_cvt_f32_i32_e32 v94, v94                                 // 000000008144: 7EBC0B5E
	v_cvt_f32_i32_e32 v95, v95                                 // 000000008148: 7EBE0B5F
	v_mul_f32_e32 v92, v15, v92                                // 00000000814C: 0AB8B90F
	v_mul_f32_e32 v93, v15, v93                                // 000000008150: 0ABABB0F
	v_mul_f32_e32 v94, v15, v94                                // 000000008154: 0ABCBD0F
	v_mul_f32_e32 v95, v15, v95                                // 000000008158: 0ABEBF0F
	v_mul_f32_dpp v92, v47, v92 row_newbcast:12 row_mask:0xf bank_mask:0xf// 00000000815C: 0AB8B8FA FF015C2F
	v_mul_f32_dpp v93, v47, v93 row_newbcast:13 row_mask:0xf bank_mask:0xf// 000000008164: 0ABABAFA FF015D2F
	v_mul_f32_dpp v94, v47, v94 row_newbcast:14 row_mask:0xf bank_mask:0xf// 00000000816C: 0ABCBCFA FF015E2F
	v_mul_f32_dpp v95, v47, v95 row_newbcast:15 row_mask:0xf bank_mask:0xf// 000000008174: 0ABEBEFA FF015F2F
	v_cvt_f32_i32_e32 v96, v96                                 // 00000000817C: 7EC00B60
	v_cvt_f32_i32_e32 v97, v97                                 // 000000008180: 7EC20B61
	v_cvt_f32_i32_e32 v98, v98                                 // 000000008184: 7EC40B62
	v_cvt_f32_i32_e32 v99, v99                                 // 000000008188: 7EC60B63
	v_mul_f32_e32 v96, v14, v96                                // 00000000818C: 0AC0C10E
	v_mul_f32_e32 v97, v14, v97                                // 000000008190: 0AC2C30E
	v_mul_f32_e32 v98, v14, v98                                // 000000008194: 0AC4C50E
	v_mul_f32_e32 v99, v14, v99                                // 000000008198: 0AC6C70E
	v_mul_f32_dpp v96, v48, v96 row_newbcast:0 row_mask:0xf bank_mask:0xf// 00000000819C: 0AC0C0FA FF015030
	v_mul_f32_dpp v97, v48, v97 row_newbcast:1 row_mask:0xf bank_mask:0xf// 0000000081A4: 0AC2C2FA FF015130
	v_mul_f32_dpp v98, v48, v98 row_newbcast:2 row_mask:0xf bank_mask:0xf// 0000000081AC: 0AC4C4FA FF015230
	v_mul_f32_dpp v99, v48, v99 row_newbcast:3 row_mask:0xf bank_mask:0xf// 0000000081B4: 0AC6C6FA FF015330
	v_cvt_f32_i32_e32 v100, v100                               // 0000000081BC: 7EC80B64
	v_cvt_f32_i32_e32 v101, v101                               // 0000000081C0: 7ECA0B65
	v_cvt_f32_i32_e32 v102, v102                               // 0000000081C4: 7ECC0B66
	v_cvt_f32_i32_e32 v103, v103                               // 0000000081C8: 7ECE0B67
	v_mul_f32_e32 v100, v15, v100                              // 0000000081CC: 0AC8C90F
	v_mul_f32_e32 v101, v15, v101                              // 0000000081D0: 0ACACB0F
	v_mul_f32_e32 v102, v15, v102                              // 0000000081D4: 0ACCCD0F
	v_mul_f32_e32 v103, v15, v103                              // 0000000081D8: 0ACECF0F
	v_mul_f32_dpp v100, v48, v100 row_newbcast:0 row_mask:0xf bank_mask:0xf// 0000000081DC: 0AC8C8FA FF015030
	v_mul_f32_dpp v101, v48, v101 row_newbcast:1 row_mask:0xf bank_mask:0xf// 0000000081E4: 0ACACAFA FF015130
	v_mul_f32_dpp v102, v48, v102 row_newbcast:2 row_mask:0xf bank_mask:0xf// 0000000081EC: 0ACCCCFA FF015230
	v_mul_f32_dpp v103, v48, v103 row_newbcast:3 row_mask:0xf bank_mask:0xf// 0000000081F4: 0ACECEFA FF015330
	s_waitcnt vmcnt(16)                                        // 0000000081FC: BF8C4F70
	buffer_load_dwordx4 a[0:3], v39, s[12:15], 0 offen         // 000000008200: E05C1000 80830027
	v_mul_f32_e32 v50, v128, v128                              // 000000008208: 0A650180
	v_mul_f32_e32 v51, v129, v129                              // 00000000820C: 0A670381
	v_mul_f32_e32 v52, v130, v130                              // 000000008210: 0A690582
	v_mul_f32_e32 v53, v131, v131                              // 000000008214: 0A6B0783
	v_fma_f32 v50, v50, s77, v1                                // 000000008218: D1CB0032 04049B32
	v_fma_f32 v51, v51, s77, v1                                // 000000008220: D1CB0033 04049B33
	v_fma_f32 v52, v52, s77, v1                                // 000000008228: D1CB0034 04049B34
	v_fma_f32 v53, v53, s77, v1                                // 000000008230: D1CB0035 04049B35
	v_mul_f32_e32 v50, v50, v128                               // 000000008238: 0A650132
	v_mul_f32_e32 v51, v51, v129                               // 00000000823C: 0A670333
	v_mul_f32_e32 v52, v52, v130                               // 000000008240: 0A690534
	v_mul_f32_e32 v53, v53, v131                               // 000000008244: 0A6B0735
	v_mul_f32_e64 v50, v50, s6                                 // 000000008248: D1050032 00000D32
	v_mul_f32_e64 v51, v51, s6                                 // 000000008250: D1050033 00000D33
	v_mul_f32_e64 v52, v52, s6                                 // 000000008258: D1050034 00000D34
	v_mul_f32_e64 v53, v53, s6                                 // 000000008260: D1050035 00000D35
	v_exp_f32_e32 v50, v50                                     // 000000008268: 7E644132
	v_exp_f32_e32 v51, v51                                     // 00000000826C: 7E664133
	v_exp_f32_e32 v52, v52                                     // 000000008270: 7E684134
	v_exp_f32_e32 v53, v53                                     // 000000008274: 7E6A4135
	buffer_load_dwordx4 a[4:7], v40, s[12:15], 0 offen         // 000000008278: E05C1000 80830428
	v_add_f32_e64 v50, v50, 1.0                                // 000000008280: D1010032 0001E532
	v_add_f32_e64 v51, v51, 1.0                                // 000000008288: D1010033 0001E533
	v_add_f32_e64 v52, v52, 1.0                                // 000000008290: D1010034 0001E534
	v_add_f32_e64 v53, v53, 1.0                                // 000000008298: D1010035 0001E535
	v_rcp_f32_e32 v50, v50                                     // 0000000082A0: 7E644532
	v_rcp_f32_e32 v51, v51                                     // 0000000082A4: 7E664533
	v_rcp_f32_e32 v52, v52                                     // 0000000082A8: 7E684534
	v_rcp_f32_e32 v53, v53                                     // 0000000082AC: 7E6A4535
	v_mul_f32_e32 v128, v128, v50                              // 0000000082B0: 0B006580
	v_mul_f32_e32 v129, v129, v51                              // 0000000082B4: 0B026781
	v_mul_f32_e32 v130, v130, v52                              // 0000000082B8: 0B046982
	v_mul_f32_e32 v131, v131, v53                              // 0000000082BC: 0B066B83
	v_mul_f32_e32 v128, v128, v64                              // 0000000082C0: 0B008180
	v_mul_f32_e32 v129, v129, v65                              // 0000000082C4: 0B028381
	v_mul_f32_e32 v130, v130, v66                              // 0000000082C8: 0B048582
	v_mul_f32_e32 v131, v131, v67                              // 0000000082CC: 0B068783
	buffer_load_dwordx4 a[8:11], v41, s[12:15], 0 offen        // 0000000082D0: E05C1000 80830829
	v_mul_f32_e32 v50, v132, v132                              // 0000000082D8: 0A650984
	v_mul_f32_e32 v51, v133, v133                              // 0000000082DC: 0A670B85
	v_mul_f32_e32 v52, v134, v134                              // 0000000082E0: 0A690D86
	v_mul_f32_e32 v53, v135, v135                              // 0000000082E4: 0A6B0F87
	v_fma_f32 v50, v50, s77, v1                                // 0000000082E8: D1CB0032 04049B32
	v_fma_f32 v51, v51, s77, v1                                // 0000000082F0: D1CB0033 04049B33
	v_fma_f32 v52, v52, s77, v1                                // 0000000082F8: D1CB0034 04049B34
	v_fma_f32 v53, v53, s77, v1                                // 000000008300: D1CB0035 04049B35
	v_mul_f32_e32 v50, v50, v132                               // 000000008308: 0A650932
	v_mul_f32_e32 v51, v51, v133                               // 00000000830C: 0A670B33
	v_mul_f32_e32 v52, v52, v134                               // 000000008310: 0A690D34
	v_mul_f32_e32 v53, v53, v135                               // 000000008314: 0A6B0F35
	v_mul_f32_e64 v50, v50, s6                                 // 000000008318: D1050032 00000D32
	v_mul_f32_e64 v51, v51, s6                                 // 000000008320: D1050033 00000D33
	v_mul_f32_e64 v52, v52, s6                                 // 000000008328: D1050034 00000D34
	v_mul_f32_e64 v53, v53, s6                                 // 000000008330: D1050035 00000D35
	v_exp_f32_e32 v50, v50                                     // 000000008338: 7E644132
	v_exp_f32_e32 v51, v51                                     // 00000000833C: 7E664133
	v_exp_f32_e32 v52, v52                                     // 000000008340: 7E684134
	v_exp_f32_e32 v53, v53                                     // 000000008344: 7E6A4135
	buffer_load_dwordx4 a[12:15], v42, s[12:15], 0 offen       // 000000008348: E05C1000 80830C2A
	s_add_u32 s12, s78, s12                                    // 000000008350: 800C0C4E
	s_addc_u32 s13, 0, s13                                     // 000000008354: 820D0D80
	v_add_f32_e64 v50, v50, 1.0                                // 000000008358: D1010032 0001E532
	v_add_f32_e64 v51, v51, 1.0                                // 000000008360: D1010033 0001E533
	v_add_f32_e64 v52, v52, 1.0                                // 000000008368: D1010034 0001E534
	v_add_f32_e64 v53, v53, 1.0                                // 000000008370: D1010035 0001E535
	v_rcp_f32_e32 v50, v50                                     // 000000008378: 7E644532
	v_rcp_f32_e32 v51, v51                                     // 00000000837C: 7E664533
	v_rcp_f32_e32 v52, v52                                     // 000000008380: 7E684534
	v_rcp_f32_e32 v53, v53                                     // 000000008384: 7E6A4535
	v_mul_f32_e32 v132, v132, v50                              // 000000008388: 0B086584
	v_mul_f32_e32 v133, v133, v51                              // 00000000838C: 0B0A6785
	v_mul_f32_e32 v134, v134, v52                              // 000000008390: 0B0C6986
	v_mul_f32_e32 v135, v135, v53                              // 000000008394: 0B0E6B87
	v_mul_f32_e32 v132, v132, v68                              // 000000008398: 0B088984
	v_mul_f32_e32 v133, v133, v69                              // 00000000839C: 0B0A8B85
	v_mul_f32_e32 v134, v134, v70                              // 0000000083A0: 0B0C8D86
	v_mul_f32_e32 v135, v135, v71                              // 0000000083A4: 0B0E8F87
	s_waitcnt vmcnt(16)                                        // 0000000083A8: BF8C4F70
	buffer_load_dwordx4 a[16:19], v39, s[12:15], 0 offen       // 0000000083AC: E05C1000 80831027
	v_mul_f32_e32 v50, v136, v136                              // 0000000083B4: 0A651188
	v_mul_f32_e32 v51, v137, v137                              // 0000000083B8: 0A671389
	v_mul_f32_e32 v52, v138, v138                              // 0000000083BC: 0A69158A
	v_mul_f32_e32 v53, v139, v139                              // 0000000083C0: 0A6B178B
	v_fma_f32 v50, v50, s77, v1                                // 0000000083C4: D1CB0032 04049B32
	v_fma_f32 v51, v51, s77, v1                                // 0000000083CC: D1CB0033 04049B33
	v_fma_f32 v52, v52, s77, v1                                // 0000000083D4: D1CB0034 04049B34
	v_fma_f32 v53, v53, s77, v1                                // 0000000083DC: D1CB0035 04049B35
	v_mul_f32_e32 v50, v50, v136                               // 0000000083E4: 0A651132
	v_mul_f32_e32 v51, v51, v137                               // 0000000083E8: 0A671333
	v_mul_f32_e32 v52, v52, v138                               // 0000000083EC: 0A691534
	v_mul_f32_e32 v53, v53, v139                               // 0000000083F0: 0A6B1735
	v_mul_f32_e64 v50, v50, s6                                 // 0000000083F4: D1050032 00000D32
	v_mul_f32_e64 v51, v51, s6                                 // 0000000083FC: D1050033 00000D33
	v_mul_f32_e64 v52, v52, s6                                 // 000000008404: D1050034 00000D34
	v_mul_f32_e64 v53, v53, s6                                 // 00000000840C: D1050035 00000D35
	v_exp_f32_e32 v50, v50                                     // 000000008414: 7E644132
	v_exp_f32_e32 v51, v51                                     // 000000008418: 7E664133
	v_exp_f32_e32 v52, v52                                     // 00000000841C: 7E684134
	v_exp_f32_e32 v53, v53                                     // 000000008420: 7E6A4135
	buffer_load_dwordx4 a[20:23], v40, s[12:15], 0 offen       // 000000008424: E05C1000 80831428
	v_add_f32_e64 v50, v50, 1.0                                // 00000000842C: D1010032 0001E532
	v_add_f32_e64 v51, v51, 1.0                                // 000000008434: D1010033 0001E533
	v_add_f32_e64 v52, v52, 1.0                                // 00000000843C: D1010034 0001E534
	v_add_f32_e64 v53, v53, 1.0                                // 000000008444: D1010035 0001E535
	v_rcp_f32_e32 v50, v50                                     // 00000000844C: 7E644532
	v_rcp_f32_e32 v51, v51                                     // 000000008450: 7E664533
	v_rcp_f32_e32 v52, v52                                     // 000000008454: 7E684534
	v_rcp_f32_e32 v53, v53                                     // 000000008458: 7E6A4535
	v_mul_f32_e32 v136, v136, v50                              // 00000000845C: 0B106588
	v_mul_f32_e32 v137, v137, v51                              // 000000008460: 0B126789
	v_mul_f32_e32 v138, v138, v52                              // 000000008464: 0B14698A
	v_mul_f32_e32 v139, v139, v53                              // 000000008468: 0B166B8B
	v_mul_f32_e32 v136, v136, v72                              // 00000000846C: 0B109188
	v_mul_f32_e32 v137, v137, v73                              // 000000008470: 0B129389
	v_mul_f32_e32 v138, v138, v74                              // 000000008474: 0B14958A
	v_mul_f32_e32 v139, v139, v75                              // 000000008478: 0B16978B
	buffer_load_dwordx4 a[24:27], v41, s[12:15], 0 offen       // 00000000847C: E05C1000 80831829
	v_mul_f32_e32 v50, v140, v140                              // 000000008484: 0A65198C
	v_mul_f32_e32 v51, v141, v141                              // 000000008488: 0A671B8D
	v_mul_f32_e32 v52, v142, v142                              // 00000000848C: 0A691D8E
	v_mul_f32_e32 v53, v143, v143                              // 000000008490: 0A6B1F8F
	v_fma_f32 v50, v50, s77, v1                                // 000000008494: D1CB0032 04049B32
	v_fma_f32 v51, v51, s77, v1                                // 00000000849C: D1CB0033 04049B33
	v_fma_f32 v52, v52, s77, v1                                // 0000000084A4: D1CB0034 04049B34
	v_fma_f32 v53, v53, s77, v1                                // 0000000084AC: D1CB0035 04049B35
	v_mul_f32_e32 v50, v50, v140                               // 0000000084B4: 0A651932
	v_mul_f32_e32 v51, v51, v141                               // 0000000084B8: 0A671B33
	v_mul_f32_e32 v52, v52, v142                               // 0000000084BC: 0A691D34
	v_mul_f32_e32 v53, v53, v143                               // 0000000084C0: 0A6B1F35
	v_mul_f32_e64 v50, v50, s6                                 // 0000000084C4: D1050032 00000D32
	v_mul_f32_e64 v51, v51, s6                                 // 0000000084CC: D1050033 00000D33
	v_mul_f32_e64 v52, v52, s6                                 // 0000000084D4: D1050034 00000D34
	v_mul_f32_e64 v53, v53, s6                                 // 0000000084DC: D1050035 00000D35
	v_exp_f32_e32 v50, v50                                     // 0000000084E4: 7E644132
	v_exp_f32_e32 v51, v51                                     // 0000000084E8: 7E664133
	v_exp_f32_e32 v52, v52                                     // 0000000084EC: 7E684134
	v_exp_f32_e32 v53, v53                                     // 0000000084F0: 7E6A4135
	buffer_load_dwordx4 a[28:31], v42, s[12:15], 0 offen       // 0000000084F4: E05C1000 80831C2A
	s_add_u32 s12, s78, s12                                    // 0000000084FC: 800C0C4E
	s_addc_u32 s13, 0, s13                                     // 000000008500: 820D0D80
	v_add_f32_e64 v50, v50, 1.0                                // 000000008504: D1010032 0001E532
	v_add_f32_e64 v51, v51, 1.0                                // 00000000850C: D1010033 0001E533
	v_add_f32_e64 v52, v52, 1.0                                // 000000008514: D1010034 0001E534
	v_add_f32_e64 v53, v53, 1.0                                // 00000000851C: D1010035 0001E535
	v_rcp_f32_e32 v50, v50                                     // 000000008524: 7E644532
	v_rcp_f32_e32 v51, v51                                     // 000000008528: 7E664533
	v_rcp_f32_e32 v52, v52                                     // 00000000852C: 7E684534
	v_rcp_f32_e32 v53, v53                                     // 000000008530: 7E6A4535
	v_mul_f32_e32 v140, v140, v50                              // 000000008534: 0B18658C
	v_mul_f32_e32 v141, v141, v51                              // 000000008538: 0B1A678D
	v_mul_f32_e32 v142, v142, v52                              // 00000000853C: 0B1C698E
	v_mul_f32_e32 v143, v143, v53                              // 000000008540: 0B1E6B8F
	v_mul_f32_e32 v140, v140, v76                              // 000000008544: 0B18998C
	v_mul_f32_e32 v141, v141, v77                              // 000000008548: 0B1A9B8D
	v_mul_f32_e32 v142, v142, v78                              // 00000000854C: 0B1C9D8E
	v_mul_f32_e32 v143, v143, v79                              // 000000008550: 0B1E9F8F
	s_waitcnt vmcnt(16)                                        // 000000008554: BF8C4F70
	buffer_load_dwordx4 a[32:35], v39, s[12:15], 0 offen       // 000000008558: E05C1000 80832027
	v_mul_f32_e32 v50, v144, v144                              // 000000008560: 0A652190
	v_mul_f32_e32 v51, v145, v145                              // 000000008564: 0A672391
	v_mul_f32_e32 v52, v146, v146                              // 000000008568: 0A692592
	v_mul_f32_e32 v53, v147, v147                              // 00000000856C: 0A6B2793
	v_fma_f32 v50, v50, s77, v1                                // 000000008570: D1CB0032 04049B32
	v_fma_f32 v51, v51, s77, v1                                // 000000008578: D1CB0033 04049B33
	v_fma_f32 v52, v52, s77, v1                                // 000000008580: D1CB0034 04049B34
	v_fma_f32 v53, v53, s77, v1                                // 000000008588: D1CB0035 04049B35
	v_mul_f32_e32 v50, v50, v144                               // 000000008590: 0A652132
	v_mul_f32_e32 v51, v51, v145                               // 000000008594: 0A672333
	v_mul_f32_e32 v52, v52, v146                               // 000000008598: 0A692534
	v_mul_f32_e32 v53, v53, v147                               // 00000000859C: 0A6B2735
	v_mul_f32_e64 v50, v50, s6                                 // 0000000085A0: D1050032 00000D32
	v_mul_f32_e64 v51, v51, s6                                 // 0000000085A8: D1050033 00000D33
	v_mul_f32_e64 v52, v52, s6                                 // 0000000085B0: D1050034 00000D34
	v_mul_f32_e64 v53, v53, s6                                 // 0000000085B8: D1050035 00000D35
	v_exp_f32_e32 v50, v50                                     // 0000000085C0: 7E644132
	v_exp_f32_e32 v51, v51                                     // 0000000085C4: 7E664133
	v_exp_f32_e32 v52, v52                                     // 0000000085C8: 7E684134
	v_exp_f32_e32 v53, v53                                     // 0000000085CC: 7E6A4135
	buffer_load_dwordx4 a[36:39], v40, s[12:15], 0 offen       // 0000000085D0: E05C1000 80832428
	v_add_f32_e64 v50, v50, 1.0                                // 0000000085D8: D1010032 0001E532
	v_add_f32_e64 v51, v51, 1.0                                // 0000000085E0: D1010033 0001E533
	v_add_f32_e64 v52, v52, 1.0                                // 0000000085E8: D1010034 0001E534
	v_add_f32_e64 v53, v53, 1.0                                // 0000000085F0: D1010035 0001E535
	v_rcp_f32_e32 v50, v50                                     // 0000000085F8: 7E644532
	v_rcp_f32_e32 v51, v51                                     // 0000000085FC: 7E664533
	v_rcp_f32_e32 v52, v52                                     // 000000008600: 7E684534
	v_rcp_f32_e32 v53, v53                                     // 000000008604: 7E6A4535
	v_mul_f32_e32 v144, v144, v50                              // 000000008608: 0B206590
	v_mul_f32_e32 v145, v145, v51                              // 00000000860C: 0B226791
	v_mul_f32_e32 v146, v146, v52                              // 000000008610: 0B246992
	v_mul_f32_e32 v147, v147, v53                              // 000000008614: 0B266B93
	v_mul_f32_e32 v144, v144, v80                              // 000000008618: 0B20A190
	v_mul_f32_e32 v145, v145, v81                              // 00000000861C: 0B22A391
	v_mul_f32_e32 v146, v146, v82                              // 000000008620: 0B24A592
	v_mul_f32_e32 v147, v147, v83                              // 000000008624: 0B26A793
	buffer_load_dwordx4 a[40:43], v41, s[12:15], 0 offen       // 000000008628: E05C1000 80832829
	v_mul_f32_e32 v50, v148, v148                              // 000000008630: 0A652994
	v_mul_f32_e32 v51, v149, v149                              // 000000008634: 0A672B95
	v_mul_f32_e32 v52, v150, v150                              // 000000008638: 0A692D96
	v_mul_f32_e32 v53, v151, v151                              // 00000000863C: 0A6B2F97
	v_fma_f32 v50, v50, s77, v1                                // 000000008640: D1CB0032 04049B32
	v_fma_f32 v51, v51, s77, v1                                // 000000008648: D1CB0033 04049B33
	v_fma_f32 v52, v52, s77, v1                                // 000000008650: D1CB0034 04049B34
	v_fma_f32 v53, v53, s77, v1                                // 000000008658: D1CB0035 04049B35
	v_mul_f32_e32 v50, v50, v148                               // 000000008660: 0A652932
	v_mul_f32_e32 v51, v51, v149                               // 000000008664: 0A672B33
	v_mul_f32_e32 v52, v52, v150                               // 000000008668: 0A692D34
	v_mul_f32_e32 v53, v53, v151                               // 00000000866C: 0A6B2F35
	v_mul_f32_e64 v50, v50, s6                                 // 000000008670: D1050032 00000D32
	v_mul_f32_e64 v51, v51, s6                                 // 000000008678: D1050033 00000D33
	v_mul_f32_e64 v52, v52, s6                                 // 000000008680: D1050034 00000D34
	v_mul_f32_e64 v53, v53, s6                                 // 000000008688: D1050035 00000D35
	v_exp_f32_e32 v50, v50                                     // 000000008690: 7E644132
	v_exp_f32_e32 v51, v51                                     // 000000008694: 7E664133
	v_exp_f32_e32 v52, v52                                     // 000000008698: 7E684134
	v_exp_f32_e32 v53, v53                                     // 00000000869C: 7E6A4135
	buffer_load_dwordx4 a[44:47], v42, s[12:15], 0 offen       // 0000000086A0: E05C1000 80832C2A
	s_add_u32 s12, s78, s12                                    // 0000000086A8: 800C0C4E
	s_addc_u32 s13, 0, s13                                     // 0000000086AC: 820D0D80
	v_add_f32_e64 v50, v50, 1.0                                // 0000000086B0: D1010032 0001E532
	v_add_f32_e64 v51, v51, 1.0                                // 0000000086B8: D1010033 0001E533
	v_add_f32_e64 v52, v52, 1.0                                // 0000000086C0: D1010034 0001E534
	v_add_f32_e64 v53, v53, 1.0                                // 0000000086C8: D1010035 0001E535
	v_rcp_f32_e32 v50, v50                                     // 0000000086D0: 7E644532
	v_rcp_f32_e32 v51, v51                                     // 0000000086D4: 7E664533
	v_rcp_f32_e32 v52, v52                                     // 0000000086D8: 7E684534
	v_rcp_f32_e32 v53, v53                                     // 0000000086DC: 7E6A4535
	v_mul_f32_e32 v148, v148, v50                              // 0000000086E0: 0B286594
	v_mul_f32_e32 v149, v149, v51                              // 0000000086E4: 0B2A6795
	v_mul_f32_e32 v150, v150, v52                              // 0000000086E8: 0B2C6996
	v_mul_f32_e32 v151, v151, v53                              // 0000000086EC: 0B2E6B97
	v_mul_f32_e32 v148, v148, v84                              // 0000000086F0: 0B28A994
	v_mul_f32_e32 v149, v149, v85                              // 0000000086F4: 0B2AAB95
	v_mul_f32_e32 v150, v150, v86                              // 0000000086F8: 0B2CAD96
	v_mul_f32_e32 v151, v151, v87                              // 0000000086FC: 0B2EAF97
	s_waitcnt vmcnt(16)                                        // 000000008700: BF8C4F70
	buffer_load_dwordx4 a[48:51], v39, s[12:15], 0 offen       // 000000008704: E05C1000 80833027
	v_mul_f32_e32 v50, v152, v152                              // 00000000870C: 0A653198
	v_mul_f32_e32 v51, v153, v153                              // 000000008710: 0A673399
	v_mul_f32_e32 v52, v154, v154                              // 000000008714: 0A69359A
	v_mul_f32_e32 v53, v155, v155                              // 000000008718: 0A6B379B
	v_fma_f32 v50, v50, s77, v1                                // 00000000871C: D1CB0032 04049B32
	v_fma_f32 v51, v51, s77, v1                                // 000000008724: D1CB0033 04049B33
	v_fma_f32 v52, v52, s77, v1                                // 00000000872C: D1CB0034 04049B34
	v_fma_f32 v53, v53, s77, v1                                // 000000008734: D1CB0035 04049B35
	v_mul_f32_e32 v50, v50, v152                               // 00000000873C: 0A653132
	v_mul_f32_e32 v51, v51, v153                               // 000000008740: 0A673333
	v_mul_f32_e32 v52, v52, v154                               // 000000008744: 0A693534
	v_mul_f32_e32 v53, v53, v155                               // 000000008748: 0A6B3735
	v_mul_f32_e64 v50, v50, s6                                 // 00000000874C: D1050032 00000D32
	v_mul_f32_e64 v51, v51, s6                                 // 000000008754: D1050033 00000D33
	v_mul_f32_e64 v52, v52, s6                                 // 00000000875C: D1050034 00000D34
	v_mul_f32_e64 v53, v53, s6                                 // 000000008764: D1050035 00000D35
	v_exp_f32_e32 v50, v50                                     // 00000000876C: 7E644132
	v_exp_f32_e32 v51, v51                                     // 000000008770: 7E664133
	v_exp_f32_e32 v52, v52                                     // 000000008774: 7E684134
	v_exp_f32_e32 v53, v53                                     // 000000008778: 7E6A4135
	buffer_load_dwordx4 a[52:55], v40, s[12:15], 0 offen       // 00000000877C: E05C1000 80833428
	v_add_f32_e64 v50, v50, 1.0                                // 000000008784: D1010032 0001E532
	v_add_f32_e64 v51, v51, 1.0                                // 00000000878C: D1010033 0001E533
	v_add_f32_e64 v52, v52, 1.0                                // 000000008794: D1010034 0001E534
	v_add_f32_e64 v53, v53, 1.0                                // 00000000879C: D1010035 0001E535
	v_rcp_f32_e32 v50, v50                                     // 0000000087A4: 7E644532
	v_rcp_f32_e32 v51, v51                                     // 0000000087A8: 7E664533
	v_rcp_f32_e32 v52, v52                                     // 0000000087AC: 7E684534
	v_rcp_f32_e32 v53, v53                                     // 0000000087B0: 7E6A4535
	v_mul_f32_e32 v152, v152, v50                              // 0000000087B4: 0B306598
	v_mul_f32_e32 v153, v153, v51                              // 0000000087B8: 0B326799
	v_mul_f32_e32 v154, v154, v52                              // 0000000087BC: 0B34699A
	v_mul_f32_e32 v155, v155, v53                              // 0000000087C0: 0B366B9B
	v_mul_f32_e32 v152, v152, v88                              // 0000000087C4: 0B30B198
	v_mul_f32_e32 v153, v153, v89                              // 0000000087C8: 0B32B399
	v_mul_f32_e32 v154, v154, v90                              // 0000000087CC: 0B34B59A
	v_mul_f32_e32 v155, v155, v91                              // 0000000087D0: 0B36B79B
	buffer_load_dwordx4 a[56:59], v41, s[12:15], 0 offen       // 0000000087D4: E05C1000 80833829
	v_mul_f32_e32 v50, v156, v156                              // 0000000087DC: 0A65399C
	v_mul_f32_e32 v51, v157, v157                              // 0000000087E0: 0A673B9D
	v_mul_f32_e32 v52, v158, v158                              // 0000000087E4: 0A693D9E
	v_mul_f32_e32 v53, v159, v159                              // 0000000087E8: 0A6B3F9F
	v_fma_f32 v50, v50, s77, v1                                // 0000000087EC: D1CB0032 04049B32
	v_fma_f32 v51, v51, s77, v1                                // 0000000087F4: D1CB0033 04049B33
	v_fma_f32 v52, v52, s77, v1                                // 0000000087FC: D1CB0034 04049B34
	v_fma_f32 v53, v53, s77, v1                                // 000000008804: D1CB0035 04049B35
	v_mul_f32_e32 v50, v50, v156                               // 00000000880C: 0A653932
	v_mul_f32_e32 v51, v51, v157                               // 000000008810: 0A673B33
	v_mul_f32_e32 v52, v52, v158                               // 000000008814: 0A693D34
	v_mul_f32_e32 v53, v53, v159                               // 000000008818: 0A6B3F35
	v_mul_f32_e64 v50, v50, s6                                 // 00000000881C: D1050032 00000D32
	v_mul_f32_e64 v51, v51, s6                                 // 000000008824: D1050033 00000D33
	v_mul_f32_e64 v52, v52, s6                                 // 00000000882C: D1050034 00000D34
	v_mul_f32_e64 v53, v53, s6                                 // 000000008834: D1050035 00000D35
	v_exp_f32_e32 v50, v50                                     // 00000000883C: 7E644132
	v_exp_f32_e32 v51, v51                                     // 000000008840: 7E664133
	v_exp_f32_e32 v52, v52                                     // 000000008844: 7E684134
	v_exp_f32_e32 v53, v53                                     // 000000008848: 7E6A4135
	buffer_load_dwordx4 a[60:63], v42, s[12:15], 0 offen       // 00000000884C: E05C1000 80833C2A
	s_add_u32 s12, s78, s12                                    // 000000008854: 800C0C4E
	s_addc_u32 s13, 0, s13                                     // 000000008858: 820D0D80
	v_add_f32_e64 v50, v50, 1.0                                // 00000000885C: D1010032 0001E532
	v_add_f32_e64 v51, v51, 1.0                                // 000000008864: D1010033 0001E533
	v_add_f32_e64 v52, v52, 1.0                                // 00000000886C: D1010034 0001E534
	v_add_f32_e64 v53, v53, 1.0                                // 000000008874: D1010035 0001E535
	v_rcp_f32_e32 v50, v50                                     // 00000000887C: 7E644532
	v_rcp_f32_e32 v51, v51                                     // 000000008880: 7E664533
	v_rcp_f32_e32 v52, v52                                     // 000000008884: 7E684534
	v_rcp_f32_e32 v53, v53                                     // 000000008888: 7E6A4535
	v_mul_f32_e32 v156, v156, v50                              // 00000000888C: 0B38659C
	v_mul_f32_e32 v157, v157, v51                              // 000000008890: 0B3A679D
	v_mul_f32_e32 v158, v158, v52                              // 000000008894: 0B3C699E
	v_mul_f32_e32 v159, v159, v53                              // 000000008898: 0B3E6B9F
	v_mul_f32_e32 v156, v156, v92                              // 00000000889C: 0B38B99C
	v_mul_f32_e32 v157, v157, v93                              // 0000000088A0: 0B3ABB9D
	v_mul_f32_e32 v158, v158, v94                              // 0000000088A4: 0B3CBD9E
	v_mul_f32_e32 v159, v159, v95                              // 0000000088A8: 0B3EBF9F
	s_waitcnt vmcnt(16)                                        // 0000000088AC: BF8C4F70
	buffer_load_dwordx4 a[64:67], v39, s[12:15], 0 offen       // 0000000088B0: E05C1000 80834027
	v_mul_f32_e32 v50, v160, v160                              // 0000000088B8: 0A6541A0
	v_mul_f32_e32 v51, v161, v161                              // 0000000088BC: 0A6743A1
	v_mul_f32_e32 v52, v162, v162                              // 0000000088C0: 0A6945A2
	v_mul_f32_e32 v53, v163, v163                              // 0000000088C4: 0A6B47A3
	v_fma_f32 v50, v50, s77, v1                                // 0000000088C8: D1CB0032 04049B32
	v_fma_f32 v51, v51, s77, v1                                // 0000000088D0: D1CB0033 04049B33
	v_fma_f32 v52, v52, s77, v1                                // 0000000088D8: D1CB0034 04049B34
	v_fma_f32 v53, v53, s77, v1                                // 0000000088E0: D1CB0035 04049B35
	v_mul_f32_e32 v50, v50, v160                               // 0000000088E8: 0A654132
	v_mul_f32_e32 v51, v51, v161                               // 0000000088EC: 0A674333
	v_mul_f32_e32 v52, v52, v162                               // 0000000088F0: 0A694534
	v_mul_f32_e32 v53, v53, v163                               // 0000000088F4: 0A6B4735
	v_mul_f32_e64 v50, v50, s6                                 // 0000000088F8: D1050032 00000D32
	v_mul_f32_e64 v51, v51, s6                                 // 000000008900: D1050033 00000D33
	v_mul_f32_e64 v52, v52, s6                                 // 000000008908: D1050034 00000D34
	v_mul_f32_e64 v53, v53, s6                                 // 000000008910: D1050035 00000D35
	v_exp_f32_e32 v50, v50                                     // 000000008918: 7E644132
	v_exp_f32_e32 v51, v51                                     // 00000000891C: 7E664133
	v_exp_f32_e32 v52, v52                                     // 000000008920: 7E684134
	v_exp_f32_e32 v53, v53                                     // 000000008924: 7E6A4135
	buffer_load_dwordx4 a[68:71], v40, s[12:15], 0 offen       // 000000008928: E05C1000 80834428
	v_add_f32_e64 v50, v50, 1.0                                // 000000008930: D1010032 0001E532
	v_add_f32_e64 v51, v51, 1.0                                // 000000008938: D1010033 0001E533
	v_add_f32_e64 v52, v52, 1.0                                // 000000008940: D1010034 0001E534
	v_add_f32_e64 v53, v53, 1.0                                // 000000008948: D1010035 0001E535
	v_rcp_f32_e32 v50, v50                                     // 000000008950: 7E644532
	v_rcp_f32_e32 v51, v51                                     // 000000008954: 7E664533
	v_rcp_f32_e32 v52, v52                                     // 000000008958: 7E684534
	v_rcp_f32_e32 v53, v53                                     // 00000000895C: 7E6A4535
	v_mul_f32_e32 v160, v160, v50                              // 000000008960: 0B4065A0
	v_mul_f32_e32 v161, v161, v51                              // 000000008964: 0B4267A1
	v_mul_f32_e32 v162, v162, v52                              // 000000008968: 0B4469A2
	v_mul_f32_e32 v163, v163, v53                              // 00000000896C: 0B466BA3
	v_mul_f32_e32 v160, v160, v96                              // 000000008970: 0B40C1A0
	v_mul_f32_e32 v161, v161, v97                              // 000000008974: 0B42C3A1
	v_mul_f32_e32 v162, v162, v98                              // 000000008978: 0B44C5A2
	v_mul_f32_e32 v163, v163, v99                              // 00000000897C: 0B46C7A3
	buffer_load_dwordx4 a[72:75], v41, s[12:15], 0 offen       // 000000008980: E05C1000 80834829
	v_mul_f32_e32 v50, v164, v164                              // 000000008988: 0A6549A4
	v_mul_f32_e32 v51, v165, v165                              // 00000000898C: 0A674BA5
	v_mul_f32_e32 v52, v166, v166                              // 000000008990: 0A694DA6
	v_mul_f32_e32 v53, v167, v167                              // 000000008994: 0A6B4FA7
	v_fma_f32 v50, v50, s77, v1                                // 000000008998: D1CB0032 04049B32
	v_fma_f32 v51, v51, s77, v1                                // 0000000089A0: D1CB0033 04049B33
	v_fma_f32 v52, v52, s77, v1                                // 0000000089A8: D1CB0034 04049B34
	v_fma_f32 v53, v53, s77, v1                                // 0000000089B0: D1CB0035 04049B35
	v_mul_f32_e32 v50, v50, v164                               // 0000000089B8: 0A654932
	v_mul_f32_e32 v51, v51, v165                               // 0000000089BC: 0A674B33
	v_mul_f32_e32 v52, v52, v166                               // 0000000089C0: 0A694D34
	v_mul_f32_e32 v53, v53, v167                               // 0000000089C4: 0A6B4F35
	v_mul_f32_e64 v50, v50, s6                                 // 0000000089C8: D1050032 00000D32
	v_mul_f32_e64 v51, v51, s6                                 // 0000000089D0: D1050033 00000D33
	v_mul_f32_e64 v52, v52, s6                                 // 0000000089D8: D1050034 00000D34
	v_mul_f32_e64 v53, v53, s6                                 // 0000000089E0: D1050035 00000D35
	v_exp_f32_e32 v50, v50                                     // 0000000089E8: 7E644132
	v_exp_f32_e32 v51, v51                                     // 0000000089EC: 7E664133
	v_exp_f32_e32 v52, v52                                     // 0000000089F0: 7E684134
	v_exp_f32_e32 v53, v53                                     // 0000000089F4: 7E6A4135
	buffer_load_dwordx4 a[76:79], v42, s[12:15], 0 offen       // 0000000089F8: E05C1000 80834C2A
	v_add_f32_e64 v50, v50, 1.0                                // 000000008A00: D1010032 0001E532
	v_add_f32_e64 v51, v51, 1.0                                // 000000008A08: D1010033 0001E533
	v_add_f32_e64 v52, v52, 1.0                                // 000000008A10: D1010034 0001E534
	v_add_f32_e64 v53, v53, 1.0                                // 000000008A18: D1010035 0001E535
	v_rcp_f32_e32 v50, v50                                     // 000000008A20: 7E644532
	v_rcp_f32_e32 v51, v51                                     // 000000008A24: 7E664533
	v_rcp_f32_e32 v52, v52                                     // 000000008A28: 7E684534
	v_rcp_f32_e32 v53, v53                                     // 000000008A2C: 7E6A4535
	v_mul_f32_e32 v164, v164, v50                              // 000000008A30: 0B4865A4
	v_mul_f32_e32 v165, v165, v51                              // 000000008A34: 0B4A67A5
	v_mul_f32_e32 v166, v166, v52                              // 000000008A38: 0B4C69A6
	v_mul_f32_e32 v167, v167, v53                              // 000000008A3C: 0B4E6BA7
	v_mul_f32_e32 v164, v164, v100                             // 000000008A40: 0B48C9A4
	v_mul_f32_e32 v165, v165, v101                             // 000000008A44: 0B4ACBA5
	v_mul_f32_e32 v166, v166, v102                             // 000000008A48: 0B4CCDA6
	v_mul_f32_e32 v167, v167, v103                             // 000000008A4C: 0B4ECFA7
	v_lshlrev_b32_e32 v50, 2, v0                               // 000000008A50: 24640082
	s_mul_i32 s60, s82, s71                                    // 000000008A54: 923C4752
	v_add_u32_e64 v80, v50, s60                                // 000000008A58: D1340050 00007932
	v_mov_b32_e32 v81, 0                                       // 000000008A60: 7EA20280
	s_mul_i32 s60, s83, s71                                    // 000000008A64: 923C4753
	v_add_u32_e64 v82, v50, s60                                // 000000008A68: D1340052 00007932
	v_mov_b32_e32 v83, 0                                       // 000000008A70: 7EA60280
	s_mul_i32 s60, s84, s71                                    // 000000008A74: 923C4754
	v_add_u32_e64 v84, v50, s60                                // 000000008A78: D1340054 00007932
	v_mov_b32_e32 v85, 0                                       // 000000008A80: 7EAA0280
	s_mul_i32 s60, s85, s71                                    // 000000008A84: 923C4755
	v_add_u32_e64 v86, v50, s60                                // 000000008A88: D1340056 00007932
	v_mov_b32_e32 v87, 0                                       // 000000008A90: 7EAE0280
	s_mul_i32 s60, s86, s71                                    // 000000008A94: 923C4756
	v_add_u32_e64 v88, v50, s60                                // 000000008A98: D1340058 00007932
	v_mov_b32_e32 v89, 0                                       // 000000008AA0: 7EB20280
	s_mul_i32 s60, s87, s71                                    // 000000008AA4: 923C4757
	v_add_u32_e64 v90, v50, s60                                // 000000008AA8: D134005A 00007932
	v_mov_b32_e32 v91, 0                                       // 000000008AB0: 7EB60280
	s_mul_i32 s60, s88, s71                                    // 000000008AB4: 923C4758
	v_add_u32_e64 v92, v50, s60                                // 000000008AB8: D134005C 00007932
	v_mov_b32_e32 v93, 0                                       // 000000008AC0: 7EBA0280
	s_mul_i32 s60, s89, s71                                    // 000000008AC4: 923C4759
	v_add_u32_e64 v94, v50, s60                                // 000000008AC8: D134005E 00007932
	v_mov_b32_e32 v95, 0                                       // 000000008AD0: 7EBE0280
	buffer_load_dword v12, v5, s[16:19], 0 offen               // 000000008AD4: E0501000 80040C05
	v_mov_b32_e32 v22, 0x358637bd                              // 000000008ADC: 7E2C02FF 358637BD
	v_mov_b32_e32 v23, 0x358637bd                              // 000000008AE4: 7E2E02FF 358637BD
	v_max3_f32 v22, |v128|, |v129|, v22                        // 000000008AEC: D1D30316 045B0380
	v_max3_f32 v22, |v130|, |v131|, v22                        // 000000008AF4: D1D30316 045B0782
	v_max3_f32 v23, |v132|, |v133|, v23                        // 000000008AFC: D1D30317 045F0B84
	v_max3_f32 v23, |v134|, |v135|, v23                        // 000000008B04: D1D30317 045F0F86
	v_max3_f32 v22, |v136|, |v137|, v22                        // 000000008B0C: D1D30316 045B1388
	v_max3_f32 v22, |v138|, |v139|, v22                        // 000000008B14: D1D30316 045B178A
	v_max3_f32 v23, |v140|, |v141|, v23                        // 000000008B1C: D1D30317 045F1B8C
	v_max3_f32 v23, |v142|, |v143|, v23                        // 000000008B24: D1D30317 045F1F8E
	v_max3_f32 v22, |v144|, |v145|, v22                        // 000000008B2C: D1D30316 045B2390
	v_max3_f32 v22, |v146|, |v147|, v22                        // 000000008B34: D1D30316 045B2792
	v_max3_f32 v23, |v148|, |v149|, v23                        // 000000008B3C: D1D30317 045F2B94
	v_max3_f32 v23, |v150|, |v151|, v23                        // 000000008B44: D1D30317 045F2F96
	v_max3_f32 v22, |v152|, |v153|, v22                        // 000000008B4C: D1D30316 045B3398
	v_max3_f32 v22, |v154|, |v155|, v22                        // 000000008B54: D1D30316 045B379A
	v_max3_f32 v23, |v156|, |v157|, v23                        // 000000008B5C: D1D30317 045F3B9C
	v_max3_f32 v23, |v158|, |v159|, v23                        // 000000008B64: D1D30317 045F3F9E
	v_max3_f32 v22, |v160|, |v161|, v22                        // 000000008B6C: D1D30316 045B43A0
	v_max3_f32 v22, |v162|, |v163|, v22                        // 000000008B74: D1D30316 045B47A2
	v_max3_f32 v23, |v164|, |v165|, v23                        // 000000008B7C: D1D30317 045F4BA4
	v_max3_f32 v23, |v166|, |v167|, v23                        // 000000008B84: D1D30317 045F4FA6
	v_lshlrev_b32_e32 v50, 3, v0                               // 000000008B8C: 24640083
	s_mul_i32 s60, 0x200, s7                                   // 000000008B90: 923C07FF 00000200
	v_add_u32_e32 v50, s60, v50                                // 000000008B98: 6864643C
	ds_write_b64 v50, v[22:23] offset:16640                    // 000000008B9C: D89A4100 00001632
	s_waitcnt lgkmcnt(0)                                       // 000000008BA4: BF8CC07F
	s_barrier                                                  // 000000008BA8: BF8A0000
	v_and_b32_e32 v50, 15, v0                                  // 000000008BAC: 2664008F
	v_lshlrev_b32_e32 v50, 3, v50                              // 000000008BB0: 24646483
	ds_read_b64 v[96:97], v50 offset:16640                     // 000000008BB4: D8EC4100 60000032
	ds_read_b64 v[98:99], v50 offset:16768                     // 000000008BBC: D8EC4180 62000032
	ds_read_b64 v[100:101], v50 offset:16896                   // 000000008BC4: D8EC4200 64000032
	ds_read_b64 v[102:103], v50 offset:17024                   // 000000008BCC: D8EC4280 66000032
	ds_read_b64 v[104:105], v50 offset:17152                   // 000000008BD4: D8EC4300 68000032
	ds_read_b64 v[106:107], v50 offset:17280                   // 000000008BDC: D8EC4380 6A000032
	ds_read_b64 v[108:109], v50 offset:17408                   // 000000008BE4: D8EC4400 6C000032
	ds_read_b64 v[110:111], v50 offset:17536                   // 000000008BEC: D8EC4480 6E000032
	ds_read_b64 v[112:113], v50 offset:17664                   // 000000008BF4: D8EC4500 70000032
	ds_read_b64 v[114:115], v50 offset:17792                   // 000000008BFC: D8EC4580 72000032
	ds_read_b64 v[116:117], v50 offset:17920                   // 000000008C04: D8EC4600 74000032
	ds_read_b64 v[118:119], v50 offset:18048                   // 000000008C0C: D8EC4680 76000032
	ds_read_b64 v[120:121], v50 offset:18176                   // 000000008C14: D8EC4700 78000032
	ds_read_b64 v[122:123], v50 offset:18304                   // 000000008C1C: D8EC4780 7A000032
	ds_read_b64 v[124:125], v50 offset:18432                   // 000000008C24: D8EC4800 7C000032
	ds_read_b64 v[126:127], v50 offset:18560                   // 000000008C2C: D8EC4880 7E000032
	s_waitcnt lgkmcnt(0)                                       // 000000008C34: BF8CC07F
	v_max3_f32 v22, |v96|, |v98|, v22                          // 000000008C38: D1D30316 045AC560
	v_max3_f32 v23, |v97|, |v99|, v23                          // 000000008C40: D1D30317 045EC761
	v_max3_f32 v22, |v100|, |v102|, v22                        // 000000008C48: D1D30316 045ACD64
	v_max3_f32 v23, |v101|, |v103|, v23                        // 000000008C50: D1D30317 045ECF65
	v_max3_f32 v22, |v104|, |v106|, v22                        // 000000008C58: D1D30316 045AD568
	v_max3_f32 v23, |v105|, |v107|, v23                        // 000000008C60: D1D30317 045ED769
	v_max3_f32 v22, |v108|, |v110|, v22                        // 000000008C68: D1D30316 045ADD6C
	v_max3_f32 v23, |v109|, |v111|, v23                        // 000000008C70: D1D30317 045EDF6D
	v_max3_f32 v22, |v112|, |v114|, v22                        // 000000008C78: D1D30316 045AE570
	v_max3_f32 v23, |v113|, |v115|, v23                        // 000000008C80: D1D30317 045EE771
	v_max3_f32 v22, |v116|, |v118|, v22                        // 000000008C88: D1D30316 045AED74
	v_max3_f32 v23, |v117|, |v119|, v23                        // 000000008C90: D1D30317 045EEF75
	v_max3_f32 v22, |v120|, |v122|, v22                        // 000000008C98: D1D30316 045AF578
	v_max3_f32 v23, |v121|, |v123|, v23                        // 000000008CA0: D1D30317 045EF779
	v_max3_f32 v22, |v124|, |v126|, v22                        // 000000008CA8: D1D30316 045AFD7C
	v_max3_f32 v23, |v125|, |v127|, v23                        // 000000008CB0: D1D30317 045EFF7D
	v_rcp_f32_e32 v22, v22                                     // 000000008CB8: 7E2C4516
	v_rcp_f32_e32 v23, v23                                     // 000000008CBC: 7E2E4517
	v_mul_f32_e32 v22, 0x42fe0000, v22                         // 000000008CC0: 0A2C2CFF 42FE0000
	v_mul_f32_e32 v23, 0x42fe0000, v23                         // 000000008CC8: 0A2E2EFF 42FE0000
	v_mul_f32_e32 v128, v22, v128                              // 000000008CD0: 0B010116
	v_mul_f32_e32 v129, v22, v129                              // 000000008CD4: 0B030316
	v_mul_f32_e32 v130, v22, v130                              // 000000008CD8: 0B050516
	v_mul_f32_e32 v131, v22, v131                              // 000000008CDC: 0B070716
	v_cvt_i32_f32_e32 v128, v128                               // 000000008CE0: 7F001180
	v_cvt_i32_f32_e32 v129, v129                               // 000000008CE4: 7F021181
	v_cvt_i32_f32_e32 v130, v130                               // 000000008CE8: 7F041182
	v_cvt_i32_f32_e32 v131, v131                               // 000000008CEC: 7F061183
	v_perm_b32 v128, v129, v128, s53                           // 000000008CF0: D1ED0080 00D70181
	v_perm_b32 v128, v130, v128, s54                           // 000000008CF8: D1ED0080 00DB0182
	v_perm_b32 v128, v131, v128, s55                           // 000000008D00: D1ED0080 00DF0183
	v_mul_f32_e32 v132, v23, v132                              // 000000008D08: 0B090917
	v_mul_f32_e32 v133, v23, v133                              // 000000008D0C: 0B0B0B17
	v_mul_f32_e32 v134, v23, v134                              // 000000008D10: 0B0D0D17
	v_mul_f32_e32 v135, v23, v135                              // 000000008D14: 0B0F0F17
	v_cvt_i32_f32_e32 v132, v132                               // 000000008D18: 7F081184
	v_cvt_i32_f32_e32 v133, v133                               // 000000008D1C: 7F0A1185
	v_cvt_i32_f32_e32 v134, v134                               // 000000008D20: 7F0C1186
	v_cvt_i32_f32_e32 v135, v135                               // 000000008D24: 7F0E1187
	v_perm_b32 v129, v133, v132, s53                           // 000000008D28: D1ED0081 00D70985
	v_perm_b32 v129, v134, v129, s54                           // 000000008D30: D1ED0081 00DB0386
	v_perm_b32 v129, v135, v129, s55                           // 000000008D38: D1ED0081 00DF0387
	v_mul_f32_e32 v136, v22, v136                              // 000000008D40: 0B111116
	v_mul_f32_e32 v137, v22, v137                              // 000000008D44: 0B131316
	v_mul_f32_e32 v138, v22, v138                              // 000000008D48: 0B151516
	v_mul_f32_e32 v139, v22, v139                              // 000000008D4C: 0B171716
	v_cvt_i32_f32_e32 v136, v136                               // 000000008D50: 7F101188
	v_cvt_i32_f32_e32 v137, v137                               // 000000008D54: 7F121189
	v_cvt_i32_f32_e32 v138, v138                               // 000000008D58: 7F14118A
	v_cvt_i32_f32_e32 v139, v139                               // 000000008D5C: 7F16118B
	v_perm_b32 v130, v137, v136, s53                           // 000000008D60: D1ED0082 00D71189
	v_perm_b32 v130, v138, v130, s54                           // 000000008D68: D1ED0082 00DB058A
	v_perm_b32 v130, v139, v130, s55                           // 000000008D70: D1ED0082 00DF058B
	v_mul_f32_e32 v140, v23, v140                              // 000000008D78: 0B191917
	v_mul_f32_e32 v141, v23, v141                              // 000000008D7C: 0B1B1B17
	v_mul_f32_e32 v142, v23, v142                              // 000000008D80: 0B1D1D17
	v_mul_f32_e32 v143, v23, v143                              // 000000008D84: 0B1F1F17
	v_cvt_i32_f32_e32 v140, v140                               // 000000008D88: 7F18118C
	v_cvt_i32_f32_e32 v141, v141                               // 000000008D8C: 7F1A118D
	v_cvt_i32_f32_e32 v142, v142                               // 000000008D90: 7F1C118E
	v_cvt_i32_f32_e32 v143, v143                               // 000000008D94: 7F1E118F
	v_perm_b32 v131, v141, v140, s53                           // 000000008D98: D1ED0083 00D7198D
	v_perm_b32 v131, v142, v131, s54                           // 000000008DA0: D1ED0083 00DB078E
	v_perm_b32 v131, v143, v131, s55                           // 000000008DA8: D1ED0083 00DF078F
	v_mul_f32_e32 v144, v22, v144                              // 000000008DB0: 0B212116
	v_mul_f32_e32 v145, v22, v145                              // 000000008DB4: 0B232316
	v_mul_f32_e32 v146, v22, v146                              // 000000008DB8: 0B252516
	v_mul_f32_e32 v147, v22, v147                              // 000000008DBC: 0B272716
	v_cvt_i32_f32_e32 v144, v144                               // 000000008DC0: 7F201190
	v_cvt_i32_f32_e32 v145, v145                               // 000000008DC4: 7F221191
	v_cvt_i32_f32_e32 v146, v146                               // 000000008DC8: 7F241192
	v_cvt_i32_f32_e32 v147, v147                               // 000000008DCC: 7F261193
	v_perm_b32 v132, v145, v144, s53                           // 000000008DD0: D1ED0084 00D72191
	v_perm_b32 v132, v146, v132, s54                           // 000000008DD8: D1ED0084 00DB0992
	v_perm_b32 v132, v147, v132, s55                           // 000000008DE0: D1ED0084 00DF0993
	v_mul_f32_e32 v148, v23, v148                              // 000000008DE8: 0B292917
	v_mul_f32_e32 v149, v23, v149                              // 000000008DEC: 0B2B2B17
	v_mul_f32_e32 v150, v23, v150                              // 000000008DF0: 0B2D2D17
	v_mul_f32_e32 v151, v23, v151                              // 000000008DF4: 0B2F2F17
	v_cvt_i32_f32_e32 v148, v148                               // 000000008DF8: 7F281194
	v_cvt_i32_f32_e32 v149, v149                               // 000000008DFC: 7F2A1195
	v_cvt_i32_f32_e32 v150, v150                               // 000000008E00: 7F2C1196
	v_cvt_i32_f32_e32 v151, v151                               // 000000008E04: 7F2E1197
	v_perm_b32 v133, v149, v148, s53                           // 000000008E08: D1ED0085 00D72995
	v_perm_b32 v133, v150, v133, s54                           // 000000008E10: D1ED0085 00DB0B96
	v_perm_b32 v133, v151, v133, s55                           // 000000008E18: D1ED0085 00DF0B97
	v_mul_f32_e32 v152, v22, v152                              // 000000008E20: 0B313116
	v_mul_f32_e32 v153, v22, v153                              // 000000008E24: 0B333316
	v_mul_f32_e32 v154, v22, v154                              // 000000008E28: 0B353516
	v_mul_f32_e32 v155, v22, v155                              // 000000008E2C: 0B373716
	v_cvt_i32_f32_e32 v152, v152                               // 000000008E30: 7F301198
	v_cvt_i32_f32_e32 v153, v153                               // 000000008E34: 7F321199
	v_cvt_i32_f32_e32 v154, v154                               // 000000008E38: 7F34119A
	v_cvt_i32_f32_e32 v155, v155                               // 000000008E3C: 7F36119B
	v_perm_b32 v134, v153, v152, s53                           // 000000008E40: D1ED0086 00D73199
	v_perm_b32 v134, v154, v134, s54                           // 000000008E48: D1ED0086 00DB0D9A
	v_perm_b32 v134, v155, v134, s55                           // 000000008E50: D1ED0086 00DF0D9B
	v_mul_f32_e32 v156, v23, v156                              // 000000008E58: 0B393917
	v_mul_f32_e32 v157, v23, v157                              // 000000008E5C: 0B3B3B17
	v_mul_f32_e32 v158, v23, v158                              // 000000008E60: 0B3D3D17
	v_mul_f32_e32 v159, v23, v159                              // 000000008E64: 0B3F3F17
	v_cvt_i32_f32_e32 v156, v156                               // 000000008E68: 7F38119C
	v_cvt_i32_f32_e32 v157, v157                               // 000000008E6C: 7F3A119D
	v_cvt_i32_f32_e32 v158, v158                               // 000000008E70: 7F3C119E
	v_cvt_i32_f32_e32 v159, v159                               // 000000008E74: 7F3E119F
	v_perm_b32 v135, v157, v156, s53                           // 000000008E78: D1ED0087 00D7399D
	v_perm_b32 v135, v158, v135, s54                           // 000000008E80: D1ED0087 00DB0F9E
	v_perm_b32 v135, v159, v135, s55                           // 000000008E88: D1ED0087 00DF0F9F
	v_mul_f32_e32 v160, v22, v160                              // 000000008E90: 0B414116
	v_mul_f32_e32 v161, v22, v161                              // 000000008E94: 0B434316
	v_mul_f32_e32 v162, v22, v162                              // 000000008E98: 0B454516
	v_mul_f32_e32 v163, v22, v163                              // 000000008E9C: 0B474716
	v_cvt_i32_f32_e32 v160, v160                               // 000000008EA0: 7F4011A0
	v_cvt_i32_f32_e32 v161, v161                               // 000000008EA4: 7F4211A1
	v_cvt_i32_f32_e32 v162, v162                               // 000000008EA8: 7F4411A2
	v_cvt_i32_f32_e32 v163, v163                               // 000000008EAC: 7F4611A3
	v_perm_b32 v136, v161, v160, s53                           // 000000008EB0: D1ED0088 00D741A1
	v_perm_b32 v136, v162, v136, s54                           // 000000008EB8: D1ED0088 00DB11A2
	v_perm_b32 v136, v163, v136, s55                           // 000000008EC0: D1ED0088 00DF11A3
	v_mul_f32_e32 v164, v23, v164                              // 000000008EC8: 0B494917
	v_mul_f32_e32 v165, v23, v165                              // 000000008ECC: 0B4B4B17
	v_mul_f32_e32 v166, v23, v166                              // 000000008ED0: 0B4D4D17
	v_mul_f32_e32 v167, v23, v167                              // 000000008ED4: 0B4F4F17
	v_cvt_i32_f32_e32 v164, v164                               // 000000008ED8: 7F4811A4
	v_cvt_i32_f32_e32 v165, v165                               // 000000008EDC: 7F4A11A5
	v_cvt_i32_f32_e32 v166, v166                               // 000000008EE0: 7F4C11A6
	v_cvt_i32_f32_e32 v167, v167                               // 000000008EE4: 7F4E11A7
	v_perm_b32 v137, v165, v164, s53                           // 000000008EE8: D1ED0089 00D749A5
	v_perm_b32 v137, v166, v137, s54                           // 000000008EF0: D1ED0089 00DB13A6
	v_perm_b32 v137, v167, v137, s55                           // 000000008EF8: D1ED0089 00DF13A7
	v_rcp_f32_e32 v24, v22                                     // 000000008F00: 7E304516
	v_rcp_f32_e32 v25, v23                                     // 000000008F04: 7E324517
	v_lshrrev_b32_e32 v50, 5, v0                               // 000000008F08: 20640085
	v_lshlrev_b32_e32 v51, 5, v50                              // 000000008F0C: 24666485
	v_and_b32_e32 v50, 31, v0                                  // 000000008F10: 2664009F
	v_lshrrev_b32_e32 v52, 4, v50                              // 000000008F14: 20686484
	v_add_u32_e32 v51, v52, v51                                // 000000008F18: 68666734
	v_and_b32_e32 v50, 15, v0                                  // 000000008F1C: 2664008F
	v_lshlrev_b32_e32 v50, 1, v50                              // 000000008F20: 24646481
	v_add_u32_e32 v51, v50, v51                                // 000000008F24: 68666732
	v_lshlrev_b32_e32 v50, 2, v51                              // 000000008F28: 24646682
	s_mul_i32 s60, 0x100, s7                                   // 000000008F2C: 923C07FF 00000100
	v_add_u32_e64 v50, v50, s60                                // 000000008F34: D1340032 00007932
	ds_write_b32 v50, v128 offset:18688                        // 000000008F3C: D81A4900 00008032
	ds_write_b32 v50, v129 offset:23808                        // 000000008F44: D81A5D00 00008132
	ds_write_b32 v50, v130 offset:19712                        // 000000008F4C: D81A4D00 00008232
	ds_write_b32 v50, v131 offset:24832                        // 000000008F54: D81A6100 00008332
	ds_write_b32 v50, v132 offset:20736                        // 000000008F5C: D81A5100 00008432
	ds_write_b32 v50, v133 offset:25856                        // 000000008F64: D81A6500 00008532
	ds_write_b32 v50, v134 offset:21760                        // 000000008F6C: D81A5500 00008632
	ds_write_b32 v50, v135 offset:26880                        // 000000008F74: D81A6900 00008732
	ds_write_b32 v50, v136 offset:22784                        // 000000008F7C: D81A5900 00008832
	ds_write_b32 v50, v137 offset:27904                        // 000000008F84: D81A6D00 00008932
	s_waitcnt lgkmcnt(0)                                       // 000000008F8C: BF8CC07F
	s_barrier                                                  // 000000008F90: BF8A0000
	v_lshrrev_b32_e32 v50, 4, v0                               // 000000008F94: 20640084
	v_lshlrev_b32_e32 v51, 6, v50                              // 000000008F98: 24666486
	v_and_b32_e32 v50, 15, v0                                  // 000000008F9C: 2664008F
	v_lshlrev_b32_e32 v50, 1, v50                              // 000000008FA0: 24646481
	v_add_u32_e32 v51, v50, v51                                // 000000008FA4: 68666732
	v_lshlrev_b32_e32 v50, 2, v51                              // 000000008FA8: 24646682
	ds_read_b64 v[128:129], v50 offset:18688                   // 000000008FAC: D8EC4900 80000032
	ds_read_b64 v[130:131], v50 offset:18816                   // 000000008FB4: D8EC4980 82000032
	ds_read_b64 v[132:133], v50 offset:19712                   // 000000008FBC: D8EC4D00 84000032
	ds_read_b64 v[134:135], v50 offset:19840                   // 000000008FC4: D8EC4D80 86000032
	ds_read_b64 v[136:137], v50 offset:20736                   // 000000008FCC: D8EC5100 88000032
	ds_read_b64 v[138:139], v50 offset:20864                   // 000000008FD4: D8EC5180 8A000032
	ds_read_b64 v[140:141], v50 offset:21760                   // 000000008FDC: D8EC5500 8C000032
	ds_read_b64 v[142:143], v50 offset:21888                   // 000000008FE4: D8EC5580 8E000032
	ds_read_b64 v[144:145], v50 offset:22784                   // 000000008FEC: D8EC5900 90000032
	ds_read_b64 v[146:147], v50 offset:22912                   // 000000008FF4: D8EC5980 92000032
	ds_read_b64 v[148:149], v50 offset:23808                   // 000000008FFC: D8EC5D00 94000032
	ds_read_b64 v[150:151], v50 offset:23936                   // 000000009004: D8EC5D80 96000032
	ds_read_b64 v[152:153], v50 offset:24832                   // 00000000900C: D8EC6100 98000032
	ds_read_b64 v[154:155], v50 offset:24960                   // 000000009014: D8EC6180 9A000032
	ds_read_b64 v[156:157], v50 offset:25856                   // 00000000901C: D8EC6500 9C000032
	ds_read_b64 v[158:159], v50 offset:25984                   // 000000009024: D8EC6580 9E000032
	ds_read_b64 v[160:161], v50 offset:26880                   // 00000000902C: D8EC6900 A0000032
	ds_read_b64 v[162:163], v50 offset:27008                   // 000000009034: D8EC6980 A2000032
	ds_read_b64 v[164:165], v50 offset:27904                   // 00000000903C: D8EC6D00 A4000032
	ds_read_b64 v[166:167], v50 offset:28032                   // 000000009044: D8EC6D80 A6000032
	s_add_u32 s12, s56, s12                                    // 00000000904C: 800C0C38
	s_addc_u32 s13, 0, s13                                     // 000000009050: 820D0D80
	s_add_u32 s16, s79, s16                                    // 000000009054: 8010104F
	s_addc_u32 s17, 0, s17                                     // 000000009058: 82111180
	s_mov_b32 s80, 0                                           // 00000000905C: BED00080
	s_waitcnt vmcnt(0) expcnt(0) lgkmcnt(0)                    // 000000009060: BF8C0000

0000000000009064 <label_1959>:
	s_waitcnt vmcnt(33)                                        // 000000009064: BF8C8F71
	s_barrier                                                  // 000000009068: BF8A0000
	v_mfma_i32_16x16x32_i8 v[168:171], a[0:1], v[128:129], 0   // 00000000906C: D3D700A8 0A030100
	buffer_load_dwordx4 a[80:83], v39, s[12:15], 0 offen       // 000000009074: E05C1000 80835027
	v_mfma_i32_16x16x32_i8 v[168:171], a[2:3], v[130:131], v[168:171]// 00000000907C: D3D700A8 0EA30502
	v_mfma_i32_16x16x32_i8 v[172:175], a[0:1], v[148:149], 0   // 000000009084: D3D700AC 0A032900
	v_mfma_i32_16x16x32_i8 v[172:175], a[2:3], v[150:151], v[172:175]// 00000000908C: D3D700AC 0EB32D02
	v_mfma_i32_16x16x32_i8 v[176:179], a[4:5], v[128:129], 0   // 000000009094: D3D700B0 0A030104
	buffer_load_dwordx4 a[84:87], v40, s[12:15], 0 offen       // 00000000909C: E05C1000 80835428
	v_mfma_i32_16x16x32_i8 v[176:179], a[6:7], v[130:131], v[176:179]// 0000000090A4: D3D700B0 0EC30506
	v_mfma_i32_16x16x32_i8 v[180:183], a[4:5], v[148:149], 0   // 0000000090AC: D3D700B4 0A032904
	v_mfma_i32_16x16x32_i8 v[180:183], a[6:7], v[150:151], v[180:183]// 0000000090B4: D3D700B4 0ED32D06
	v_mfma_i32_16x16x32_i8 v[184:187], a[8:9], v[128:129], 0   // 0000000090BC: D3D700B8 0A030108
	buffer_load_dwordx4 a[88:91], v41, s[12:15], 0 offen       // 0000000090C4: E05C1000 80835829
	v_mfma_i32_16x16x32_i8 v[184:187], a[10:11], v[130:131], v[184:187]// 0000000090CC: D3D700B8 0EE3050A
	v_mfma_i32_16x16x32_i8 v[188:191], a[8:9], v[148:149], 0   // 0000000090D4: D3D700BC 0A032908
	v_mfma_i32_16x16x32_i8 v[188:191], a[10:11], v[150:151], v[188:191]// 0000000090DC: D3D700BC 0EF32D0A
	v_mfma_i32_16x16x32_i8 v[192:195], a[12:13], v[128:129], 0 // 0000000090E4: D3D700C0 0A03010C
	buffer_load_dwordx4 a[92:95], v42, s[12:15], 0 offen       // 0000000090EC: E05C1000 80835C2A
	s_add_u32 s12, s78, s12                                    // 0000000090F4: 800C0C4E
	s_addc_u32 s13, 0, s13                                     // 0000000090F8: 820D0D80
	v_mfma_i32_16x16x32_i8 v[192:195], a[14:15], v[130:131], v[192:195]// 0000000090FC: D3D700C0 0F03050E
	v_mfma_i32_16x16x32_i8 v[196:199], a[12:13], v[148:149], 0 // 000000009104: D3D700C4 0A03290C
	v_mfma_i32_16x16x32_i8 v[196:199], a[14:15], v[150:151], v[196:199]// 00000000910C: D3D700C4 0F132D0E
	s_waitcnt vmcnt(33)                                        // 000000009114: BF8C8F71
	v_mfma_i32_16x16x32_i8 v[168:171], a[16:17], v[132:133], v[168:171]// 000000009118: D3D700A8 0EA30910
	buffer_load_dwordx4 a[96:99], v39, s[12:15], 0 offen       // 000000009120: E05C1000 80836027
	v_mfma_i32_16x16x32_i8 v[168:171], a[18:19], v[134:135], v[168:171]// 000000009128: D3D700A8 0EA30D12
	v_mfma_i32_16x16x32_i8 v[172:175], a[16:17], v[152:153], v[172:175]// 000000009130: D3D700AC 0EB33110
	v_mfma_i32_16x16x32_i8 v[172:175], a[18:19], v[154:155], v[172:175]// 000000009138: D3D700AC 0EB33512
	v_mfma_i32_16x16x32_i8 v[176:179], a[20:21], v[132:133], v[176:179]// 000000009140: D3D700B0 0EC30914
	buffer_load_dwordx4 a[100:103], v40, s[12:15], 0 offen     // 000000009148: E05C1000 80836428
	v_mfma_i32_16x16x32_i8 v[176:179], a[22:23], v[134:135], v[176:179]// 000000009150: D3D700B0 0EC30D16
	v_mfma_i32_16x16x32_i8 v[180:183], a[20:21], v[152:153], v[180:183]// 000000009158: D3D700B4 0ED33114
	v_mfma_i32_16x16x32_i8 v[180:183], a[22:23], v[154:155], v[180:183]// 000000009160: D3D700B4 0ED33516
	v_mfma_i32_16x16x32_i8 v[184:187], a[24:25], v[132:133], v[184:187]// 000000009168: D3D700B8 0EE30918
	buffer_load_dwordx4 a[104:107], v41, s[12:15], 0 offen     // 000000009170: E05C1000 80836829
	v_mfma_i32_16x16x32_i8 v[184:187], a[26:27], v[134:135], v[184:187]// 000000009178: D3D700B8 0EE30D1A
	v_mfma_i32_16x16x32_i8 v[188:191], a[24:25], v[152:153], v[188:191]// 000000009180: D3D700BC 0EF33118
	v_mfma_i32_16x16x32_i8 v[188:191], a[26:27], v[154:155], v[188:191]// 000000009188: D3D700BC 0EF3351A
	v_mfma_i32_16x16x32_i8 v[192:195], a[28:29], v[132:133], v[192:195]// 000000009190: D3D700C0 0F03091C
	buffer_load_dwordx4 a[108:111], v42, s[12:15], 0 offen     // 000000009198: E05C1000 80836C2A
	s_add_u32 s12, s78, s12                                    // 0000000091A0: 800C0C4E
	s_addc_u32 s13, 0, s13                                     // 0000000091A4: 820D0D80
	v_mfma_i32_16x16x32_i8 v[192:195], a[30:31], v[134:135], v[192:195]// 0000000091A8: D3D700C0 0F030D1E
	v_mfma_i32_16x16x32_i8 v[196:199], a[28:29], v[152:153], v[196:199]// 0000000091B0: D3D700C4 0F13311C
	v_mfma_i32_16x16x32_i8 v[196:199], a[30:31], v[154:155], v[196:199]// 0000000091B8: D3D700C4 0F13351E
	s_waitcnt vmcnt(33)                                        // 0000000091C0: BF8C8F71
	v_mfma_i32_16x16x32_i8 v[168:171], a[32:33], v[136:137], v[168:171]// 0000000091C4: D3D700A8 0EA31120
	buffer_load_dwordx4 a[112:115], v39, s[12:15], 0 offen     // 0000000091CC: E05C1000 80837027
	v_mfma_i32_16x16x32_i8 v[168:171], a[34:35], v[138:139], v[168:171]// 0000000091D4: D3D700A8 0EA31522
	v_mfma_i32_16x16x32_i8 v[172:175], a[32:33], v[156:157], v[172:175]// 0000000091DC: D3D700AC 0EB33920
	v_mfma_i32_16x16x32_i8 v[172:175], a[34:35], v[158:159], v[172:175]// 0000000091E4: D3D700AC 0EB33D22
	v_mfma_i32_16x16x32_i8 v[176:179], a[36:37], v[136:137], v[176:179]// 0000000091EC: D3D700B0 0EC31124
	buffer_load_dwordx4 a[116:119], v40, s[12:15], 0 offen     // 0000000091F4: E05C1000 80837428
	v_mfma_i32_16x16x32_i8 v[176:179], a[38:39], v[138:139], v[176:179]// 0000000091FC: D3D700B0 0EC31526
	v_mfma_i32_16x16x32_i8 v[180:183], a[36:37], v[156:157], v[180:183]// 000000009204: D3D700B4 0ED33924
	v_mfma_i32_16x16x32_i8 v[180:183], a[38:39], v[158:159], v[180:183]// 00000000920C: D3D700B4 0ED33D26
	v_mfma_i32_16x16x32_i8 v[184:187], a[40:41], v[136:137], v[184:187]// 000000009214: D3D700B8 0EE31128
	buffer_load_dwordx4 a[120:123], v41, s[12:15], 0 offen     // 00000000921C: E05C1000 80837829
	v_mfma_i32_16x16x32_i8 v[184:187], a[42:43], v[138:139], v[184:187]// 000000009224: D3D700B8 0EE3152A
	v_mfma_i32_16x16x32_i8 v[188:191], a[40:41], v[156:157], v[188:191]// 00000000922C: D3D700BC 0EF33928
	v_mfma_i32_16x16x32_i8 v[188:191], a[42:43], v[158:159], v[188:191]// 000000009234: D3D700BC 0EF33D2A
	v_mfma_i32_16x16x32_i8 v[192:195], a[44:45], v[136:137], v[192:195]// 00000000923C: D3D700C0 0F03112C
	buffer_load_dwordx4 a[124:127], v42, s[12:15], 0 offen     // 000000009244: E05C1000 80837C2A
	s_add_u32 s12, s78, s12                                    // 00000000924C: 800C0C4E
	s_addc_u32 s13, 0, s13                                     // 000000009250: 820D0D80
	v_mfma_i32_16x16x32_i8 v[192:195], a[46:47], v[138:139], v[192:195]// 000000009254: D3D700C0 0F03152E
	v_mfma_i32_16x16x32_i8 v[196:199], a[44:45], v[156:157], v[196:199]// 00000000925C: D3D700C4 0F13392C
	v_mfma_i32_16x16x32_i8 v[196:199], a[46:47], v[158:159], v[196:199]// 000000009264: D3D700C4 0F133D2E
	s_waitcnt vmcnt(33)                                        // 00000000926C: BF8C8F71
	v_mfma_i32_16x16x32_i8 v[168:171], a[48:49], v[140:141], v[168:171]// 000000009270: D3D700A8 0EA31930
	buffer_load_dwordx4 a[128:131], v39, s[12:15], 0 offen     // 000000009278: E05C1000 80838027
	v_mfma_i32_16x16x32_i8 v[168:171], a[50:51], v[142:143], v[168:171]// 000000009280: D3D700A8 0EA31D32
	v_mfma_i32_16x16x32_i8 v[172:175], a[48:49], v[160:161], v[172:175]// 000000009288: D3D700AC 0EB34130
	v_mfma_i32_16x16x32_i8 v[172:175], a[50:51], v[162:163], v[172:175]// 000000009290: D3D700AC 0EB34532
	v_mfma_i32_16x16x32_i8 v[176:179], a[52:53], v[140:141], v[176:179]// 000000009298: D3D700B0 0EC31934
	buffer_load_dwordx4 a[132:135], v40, s[12:15], 0 offen     // 0000000092A0: E05C1000 80838428
	v_mfma_i32_16x16x32_i8 v[176:179], a[54:55], v[142:143], v[176:179]// 0000000092A8: D3D700B0 0EC31D36
	v_mfma_i32_16x16x32_i8 v[180:183], a[52:53], v[160:161], v[180:183]// 0000000092B0: D3D700B4 0ED34134
	v_mfma_i32_16x16x32_i8 v[180:183], a[54:55], v[162:163], v[180:183]// 0000000092B8: D3D700B4 0ED34536
	v_mfma_i32_16x16x32_i8 v[184:187], a[56:57], v[140:141], v[184:187]// 0000000092C0: D3D700B8 0EE31938
	buffer_load_dwordx4 a[136:139], v41, s[12:15], 0 offen     // 0000000092C8: E05C1000 80838829
	v_mfma_i32_16x16x32_i8 v[184:187], a[58:59], v[142:143], v[184:187]// 0000000092D0: D3D700B8 0EE31D3A
	v_mfma_i32_16x16x32_i8 v[188:191], a[56:57], v[160:161], v[188:191]// 0000000092D8: D3D700BC 0EF34138
	v_mfma_i32_16x16x32_i8 v[188:191], a[58:59], v[162:163], v[188:191]// 0000000092E0: D3D700BC 0EF3453A
	v_mfma_i32_16x16x32_i8 v[192:195], a[60:61], v[140:141], v[192:195]// 0000000092E8: D3D700C0 0F03193C
	buffer_load_dwordx4 a[140:143], v42, s[12:15], 0 offen     // 0000000092F0: E05C1000 80838C2A
	s_add_u32 s12, s78, s12                                    // 0000000092F8: 800C0C4E
	s_addc_u32 s13, 0, s13                                     // 0000000092FC: 820D0D80
	v_mfma_i32_16x16x32_i8 v[192:195], a[62:63], v[142:143], v[192:195]// 000000009300: D3D700C0 0F031D3E
	v_mfma_i32_16x16x32_i8 v[196:199], a[60:61], v[160:161], v[196:199]// 000000009308: D3D700C4 0F13413C
	v_mfma_i32_16x16x32_i8 v[196:199], a[62:63], v[162:163], v[196:199]// 000000009310: D3D700C4 0F13453E
	s_waitcnt vmcnt(32)                                        // 000000009318: BF8C8F70
	v_mfma_i32_16x16x32_i8 v[168:171], a[64:65], v[144:145], v[168:171]// 00000000931C: D3D700A8 0EA32140
	buffer_load_dwordx4 a[144:147], v39, s[12:15], 0 offen     // 000000009324: E05C1000 80839027
	v_mfma_i32_16x16x32_i8 v[168:171], a[66:67], v[146:147], v[168:171]// 00000000932C: D3D700A8 0EA32542
	v_mfma_i32_16x16x32_i8 v[172:175], a[64:65], v[164:165], v[172:175]// 000000009334: D3D700AC 0EB34940
	buffer_load_dword v13, v5, s[16:19], 0 offen               // 00000000933C: E0501000 80040D05
	v_mfma_i32_16x16x32_i8 v[172:175], a[66:67], v[166:167], v[172:175]// 000000009344: D3D700AC 0EB34D42
	v_mfma_i32_16x16x32_i8 v[176:179], a[68:69], v[144:145], v[176:179]// 00000000934C: D3D700B0 0EC32144
	buffer_load_dwordx4 a[148:151], v40, s[12:15], 0 offen     // 000000009354: E05C1000 80839428
	v_mfma_i32_16x16x32_i8 v[176:179], a[70:71], v[146:147], v[176:179]// 00000000935C: D3D700B0 0EC32546
	v_mfma_i32_16x16x32_i8 v[180:183], a[68:69], v[164:165], v[180:183]// 000000009364: D3D700B4 0ED34944
	v_mfma_i32_16x16x32_i8 v[180:183], a[70:71], v[166:167], v[180:183]// 00000000936C: D3D700B4 0ED34D46
	v_mfma_i32_16x16x32_i8 v[184:187], a[72:73], v[144:145], v[184:187]// 000000009374: D3D700B8 0EE32148
	buffer_load_dwordx4 a[152:155], v41, s[12:15], 0 offen     // 00000000937C: E05C1000 80839829
	v_mfma_i32_16x16x32_i8 v[184:187], a[74:75], v[146:147], v[184:187]// 000000009384: D3D700B8 0EE3254A
	v_mfma_i32_16x16x32_i8 v[188:191], a[72:73], v[164:165], v[188:191]// 00000000938C: D3D700BC 0EF34948
	v_mfma_i32_16x16x32_i8 v[188:191], a[74:75], v[166:167], v[188:191]// 000000009394: D3D700BC 0EF34D4A
	v_mfma_i32_16x16x32_i8 v[192:195], a[76:77], v[144:145], v[192:195]// 00000000939C: D3D700C0 0F03214C
	buffer_load_dwordx4 a[156:159], v42, s[12:15], 0 offen     // 0000000093A4: E05C1000 80839C2A
	v_mfma_i32_16x16x32_i8 v[192:195], a[78:79], v[146:147], v[192:195]// 0000000093AC: D3D700C0 0F03254E
	v_mfma_i32_16x16x32_i8 v[196:199], a[76:77], v[164:165], v[196:199]// 0000000093B4: D3D700C4 0F13494C
	v_mfma_i32_16x16x32_i8 v[196:199], a[78:79], v[166:167], v[196:199]// 0000000093BC: D3D700C4 0F134D4E
	s_add_u32 s60, 0x200, s80                                  // 0000000093C4: 803C50FF 00000200
	s_cmp_lt_u32 s60, s81                                      // 0000000093CC: BF0A513C
	s_cselect_b32 s56, s56, 0                                  // 0000000093D0: 85388038
	s_cselect_b32 s78, s78, 0                                  // 0000000093D4: 854E804E
	s_cselect_b32 s79, s79, 0                                  // 0000000093D8: 854F804F
	s_add_u32 s12, s56, s12                                    // 0000000093DC: 800C0C38
	s_addc_u32 s13, 0, s13                                     // 0000000093E0: 820D0D80
	s_add_u32 s16, s79, s16                                    // 0000000093E4: 8010104F
	s_addc_u32 s17, 0, s17                                     // 0000000093E8: 82111180
	v_cvt_f32_i32_e32 v168, v168                               // 0000000093EC: 7F500BA8
	v_cvt_f32_i32_e32 v169, v169                               // 0000000093F0: 7F520BA9
	v_cvt_f32_i32_e32 v170, v170                               // 0000000093F4: 7F540BAA
	v_cvt_f32_i32_e32 v171, v171                               // 0000000093F8: 7F560BAB
	v_mul_f32_e32 v168, v24, v168                              // 0000000093FC: 0B515118
	v_mul_f32_e32 v169, v24, v169                              // 000000009400: 0B535318
	v_mul_f32_e32 v170, v24, v170                              // 000000009404: 0B555518
	v_mul_f32_e32 v171, v24, v171                              // 000000009408: 0B575718
	v_mul_f32_dpp v168, v12, v168 row_newbcast:0 row_mask:0xf bank_mask:0xf// 00000000940C: 0B5150FA FF01500C
	v_mul_f32_dpp v169, v12, v169 row_newbcast:1 row_mask:0xf bank_mask:0xf// 000000009414: 0B5352FA FF01510C
	v_mul_f32_dpp v170, v12, v170 row_newbcast:2 row_mask:0xf bank_mask:0xf// 00000000941C: 0B5554FA FF01520C
	v_mul_f32_dpp v171, v12, v171 row_newbcast:3 row_mask:0xf bank_mask:0xf// 000000009424: 0B5756FA FF01530C
	v_mul_f32_e32 v168, v20, v168                              // 00000000942C: 0B515114
	v_mul_f32_e32 v169, v20, v169                              // 000000009430: 0B535314
	v_mul_f32_e32 v170, v20, v170                              // 000000009434: 0B555514
	v_mul_f32_e32 v171, v20, v171                              // 000000009438: 0B575714
	v_cvt_f32_i32_e32 v172, v172                               // 00000000943C: 7F580BAC
	v_cvt_f32_i32_e32 v173, v173                               // 000000009440: 7F5A0BAD
	v_cvt_f32_i32_e32 v174, v174                               // 000000009444: 7F5C0BAE
	v_cvt_f32_i32_e32 v175, v175                               // 000000009448: 7F5E0BAF
	v_mul_f32_e32 v172, v25, v172                              // 00000000944C: 0B595919
	v_mul_f32_e32 v173, v25, v173                              // 000000009450: 0B5B5B19
	v_mul_f32_e32 v174, v25, v174                              // 000000009454: 0B5D5D19
	v_mul_f32_e32 v175, v25, v175                              // 000000009458: 0B5F5F19
	v_mul_f32_dpp v172, v12, v172 row_newbcast:0 row_mask:0xf bank_mask:0xf// 00000000945C: 0B5958FA FF01500C
	v_mul_f32_dpp v173, v12, v173 row_newbcast:1 row_mask:0xf bank_mask:0xf// 000000009464: 0B5B5AFA FF01510C
	v_mul_f32_dpp v174, v12, v174 row_newbcast:2 row_mask:0xf bank_mask:0xf// 00000000946C: 0B5D5CFA FF01520C
	v_mul_f32_dpp v175, v12, v175 row_newbcast:3 row_mask:0xf bank_mask:0xf// 000000009474: 0B5F5EFA FF01530C
	v_mul_f32_e32 v172, v21, v172                              // 00000000947C: 0B595915
	v_mul_f32_e32 v173, v21, v173                              // 000000009480: 0B5B5B15
	v_mul_f32_e32 v174, v21, v174                              // 000000009484: 0B5D5D15
	v_mul_f32_e32 v175, v21, v175                              // 000000009488: 0B5F5F15
	v_cvt_f32_i32_e32 v176, v176                               // 00000000948C: 7F600BB0
	v_cvt_f32_i32_e32 v177, v177                               // 000000009490: 7F620BB1
	v_cvt_f32_i32_e32 v178, v178                               // 000000009494: 7F640BB2
	v_cvt_f32_i32_e32 v179, v179                               // 000000009498: 7F660BB3
	v_mul_f32_e32 v176, v24, v176                              // 00000000949C: 0B616118
	v_mul_f32_e32 v177, v24, v177                              // 0000000094A0: 0B636318
	v_mul_f32_e32 v178, v24, v178                              // 0000000094A4: 0B656518
	v_mul_f32_e32 v179, v24, v179                              // 0000000094A8: 0B676718
	v_mul_f32_dpp v176, v12, v176 row_newbcast:4 row_mask:0xf bank_mask:0xf// 0000000094AC: 0B6160FA FF01540C
	v_mul_f32_dpp v177, v12, v177 row_newbcast:5 row_mask:0xf bank_mask:0xf// 0000000094B4: 0B6362FA FF01550C
	v_mul_f32_dpp v178, v12, v178 row_newbcast:6 row_mask:0xf bank_mask:0xf// 0000000094BC: 0B6564FA FF01560C
	v_mul_f32_dpp v179, v12, v179 row_newbcast:7 row_mask:0xf bank_mask:0xf// 0000000094C4: 0B6766FA FF01570C
	v_mul_f32_e32 v176, v20, v176                              // 0000000094CC: 0B616114
	v_mul_f32_e32 v177, v20, v177                              // 0000000094D0: 0B636314
	v_mul_f32_e32 v178, v20, v178                              // 0000000094D4: 0B656514
	v_mul_f32_e32 v179, v20, v179                              // 0000000094D8: 0B676714
	v_cvt_f32_i32_e32 v180, v180                               // 0000000094DC: 7F680BB4
	v_cvt_f32_i32_e32 v181, v181                               // 0000000094E0: 7F6A0BB5
	v_cvt_f32_i32_e32 v182, v182                               // 0000000094E4: 7F6C0BB6
	v_cvt_f32_i32_e32 v183, v183                               // 0000000094E8: 7F6E0BB7
	v_mul_f32_e32 v180, v25, v180                              // 0000000094EC: 0B696919
	v_mul_f32_e32 v181, v25, v181                              // 0000000094F0: 0B6B6B19
	v_mul_f32_e32 v182, v25, v182                              // 0000000094F4: 0B6D6D19
	v_mul_f32_e32 v183, v25, v183                              // 0000000094F8: 0B6F6F19
	v_mul_f32_dpp v180, v12, v180 row_newbcast:4 row_mask:0xf bank_mask:0xf// 0000000094FC: 0B6968FA FF01540C
	v_mul_f32_dpp v181, v12, v181 row_newbcast:5 row_mask:0xf bank_mask:0xf// 000000009504: 0B6B6AFA FF01550C
	v_mul_f32_dpp v182, v12, v182 row_newbcast:6 row_mask:0xf bank_mask:0xf// 00000000950C: 0B6D6CFA FF01560C
	v_mul_f32_dpp v183, v12, v183 row_newbcast:7 row_mask:0xf bank_mask:0xf// 000000009514: 0B6F6EFA FF01570C
	v_mul_f32_e32 v180, v21, v180                              // 00000000951C: 0B696915
	v_mul_f32_e32 v181, v21, v181                              // 000000009520: 0B6B6B15
	v_mul_f32_e32 v182, v21, v182                              // 000000009524: 0B6D6D15
	v_mul_f32_e32 v183, v21, v183                              // 000000009528: 0B6F6F15
	v_cvt_f32_i32_e32 v184, v184                               // 00000000952C: 7F700BB8
	v_cvt_f32_i32_e32 v185, v185                               // 000000009530: 7F720BB9
	v_cvt_f32_i32_e32 v186, v186                               // 000000009534: 7F740BBA
	v_cvt_f32_i32_e32 v187, v187                               // 000000009538: 7F760BBB
	v_mul_f32_e32 v184, v24, v184                              // 00000000953C: 0B717118
	v_mul_f32_e32 v185, v24, v185                              // 000000009540: 0B737318
	v_mul_f32_e32 v186, v24, v186                              // 000000009544: 0B757518
	v_mul_f32_e32 v187, v24, v187                              // 000000009548: 0B777718
	v_mul_f32_dpp v184, v12, v184 row_newbcast:8 row_mask:0xf bank_mask:0xf// 00000000954C: 0B7170FA FF01580C
	v_mul_f32_dpp v185, v12, v185 row_newbcast:9 row_mask:0xf bank_mask:0xf// 000000009554: 0B7372FA FF01590C
	v_mul_f32_dpp v186, v12, v186 row_newbcast:10 row_mask:0xf bank_mask:0xf// 00000000955C: 0B7574FA FF015A0C
	v_mul_f32_dpp v187, v12, v187 row_newbcast:11 row_mask:0xf bank_mask:0xf// 000000009564: 0B7776FA FF015B0C
	v_mul_f32_e32 v184, v20, v184                              // 00000000956C: 0B717114
	v_mul_f32_e32 v185, v20, v185                              // 000000009570: 0B737314
	v_mul_f32_e32 v186, v20, v186                              // 000000009574: 0B757514
	v_mul_f32_e32 v187, v20, v187                              // 000000009578: 0B777714
	v_cvt_f32_i32_e32 v188, v188                               // 00000000957C: 7F780BBC
	v_cvt_f32_i32_e32 v189, v189                               // 000000009580: 7F7A0BBD
	v_cvt_f32_i32_e32 v190, v190                               // 000000009584: 7F7C0BBE
	v_cvt_f32_i32_e32 v191, v191                               // 000000009588: 7F7E0BBF
	v_mul_f32_e32 v188, v25, v188                              // 00000000958C: 0B797919
	v_mul_f32_e32 v189, v25, v189                              // 000000009590: 0B7B7B19
	v_mul_f32_e32 v190, v25, v190                              // 000000009594: 0B7D7D19
	v_mul_f32_e32 v191, v25, v191                              // 000000009598: 0B7F7F19
	v_mul_f32_dpp v188, v12, v188 row_newbcast:8 row_mask:0xf bank_mask:0xf// 00000000959C: 0B7978FA FF01580C
	v_mul_f32_dpp v189, v12, v189 row_newbcast:9 row_mask:0xf bank_mask:0xf// 0000000095A4: 0B7B7AFA FF01590C
	v_mul_f32_dpp v190, v12, v190 row_newbcast:10 row_mask:0xf bank_mask:0xf// 0000000095AC: 0B7D7CFA FF015A0C
	v_mul_f32_dpp v191, v12, v191 row_newbcast:11 row_mask:0xf bank_mask:0xf// 0000000095B4: 0B7F7EFA FF015B0C
	v_mul_f32_e32 v188, v21, v188                              // 0000000095BC: 0B797915
	v_mul_f32_e32 v189, v21, v189                              // 0000000095C0: 0B7B7B15
	v_mul_f32_e32 v190, v21, v190                              // 0000000095C4: 0B7D7D15
	v_mul_f32_e32 v191, v21, v191                              // 0000000095C8: 0B7F7F15
	v_cvt_f32_i32_e32 v192, v192                               // 0000000095CC: 7F800BC0
	v_cvt_f32_i32_e32 v193, v193                               // 0000000095D0: 7F820BC1
	v_cvt_f32_i32_e32 v194, v194                               // 0000000095D4: 7F840BC2
	v_cvt_f32_i32_e32 v195, v195                               // 0000000095D8: 7F860BC3
	v_mul_f32_e32 v192, v24, v192                              // 0000000095DC: 0B818118
	v_mul_f32_e32 v193, v24, v193                              // 0000000095E0: 0B838318
	v_mul_f32_e32 v194, v24, v194                              // 0000000095E4: 0B858518
	v_mul_f32_e32 v195, v24, v195                              // 0000000095E8: 0B878718
	v_mul_f32_dpp v192, v12, v192 row_newbcast:12 row_mask:0xf bank_mask:0xf// 0000000095EC: 0B8180FA FF015C0C
	v_mul_f32_dpp v193, v12, v193 row_newbcast:13 row_mask:0xf bank_mask:0xf// 0000000095F4: 0B8382FA FF015D0C
	v_mul_f32_dpp v194, v12, v194 row_newbcast:14 row_mask:0xf bank_mask:0xf// 0000000095FC: 0B8584FA FF015E0C
	v_mul_f32_dpp v195, v12, v195 row_newbcast:15 row_mask:0xf bank_mask:0xf// 000000009604: 0B8786FA FF015F0C
	v_mul_f32_e32 v192, v20, v192                              // 00000000960C: 0B818114
	v_mul_f32_e32 v193, v20, v193                              // 000000009610: 0B838314
	v_mul_f32_e32 v194, v20, v194                              // 000000009614: 0B858514
	v_mul_f32_e32 v195, v20, v195                              // 000000009618: 0B878714
	v_cvt_f32_i32_e32 v196, v196                               // 00000000961C: 7F880BC4
	v_cvt_f32_i32_e32 v197, v197                               // 000000009620: 7F8A0BC5
	v_cvt_f32_i32_e32 v198, v198                               // 000000009624: 7F8C0BC6
	v_cvt_f32_i32_e32 v199, v199                               // 000000009628: 7F8E0BC7
	v_mul_f32_e32 v196, v25, v196                              // 00000000962C: 0B898919
	v_mul_f32_e32 v197, v25, v197                              // 000000009630: 0B8B8B19
	v_mul_f32_e32 v198, v25, v198                              // 000000009634: 0B8D8D19
	v_mul_f32_e32 v199, v25, v199                              // 000000009638: 0B8F8F19
	v_mul_f32_dpp v196, v12, v196 row_newbcast:12 row_mask:0xf bank_mask:0xf// 00000000963C: 0B8988FA FF015C0C
	v_mul_f32_dpp v197, v12, v197 row_newbcast:13 row_mask:0xf bank_mask:0xf// 000000009644: 0B8B8AFA FF015D0C
	v_mul_f32_dpp v198, v12, v198 row_newbcast:14 row_mask:0xf bank_mask:0xf// 00000000964C: 0B8D8CFA FF015E0C
	v_mul_f32_dpp v199, v12, v199 row_newbcast:15 row_mask:0xf bank_mask:0xf// 000000009654: 0B8F8EFA FF015F0C
	v_mul_f32_e32 v196, v21, v196                              // 00000000965C: 0B898915
	v_mul_f32_e32 v197, v21, v197                              // 000000009660: 0B8B8B15
	v_mul_f32_e32 v198, v21, v198                              // 000000009664: 0B8D8D15
	v_mul_f32_e32 v199, v21, v199                              // 000000009668: 0B8F8F15
	v_cmp_u_f32_e64 s[48:49], v168, v168                       // 00000000966C: D0480030 000351A8
	v_add3_u32 v43, v168, v46, 1                               // 000000009674: D1FF002B 02065DA8
	v_cndmask_b32_e64 v50, v43, v45, s[48:49]                  // 00000000967C: D1000032 00C25B2B
	v_cmp_u_f32_e64 s[48:49], v169, v169                       // 000000009684: D0480030 000353A9
	v_add3_u32 v43, v169, v46, 1                               // 00000000968C: D1FF002B 02065DA9
	v_cndmask_b32_e64 v51, v43, v45, s[48:49]                  // 000000009694: D1000033 00C25B2B
	v_perm_b32 v168, v51, v50, s52                             // 00000000969C: D1ED00A8 00D26533
	v_cmp_u_f32_e64 s[48:49], v170, v170                       // 0000000096A4: D0480030 000355AA
	v_add3_u32 v43, v170, v46, 1                               // 0000000096AC: D1FF002B 02065DAA
	v_cndmask_b32_e64 v50, v43, v45, s[48:49]                  // 0000000096B4: D1000032 00C25B2B
	v_cmp_u_f32_e64 s[48:49], v171, v171                       // 0000000096BC: D0480030 000357AB
	v_add3_u32 v43, v171, v46, 1                               // 0000000096C4: D1FF002B 02065DAB
	v_cndmask_b32_e64 v51, v43, v45, s[48:49]                  // 0000000096CC: D1000033 00C25B2B
	v_perm_b32 v169, v51, v50, s52                             // 0000000096D4: D1ED00A9 00D26533
	v_cmp_u_f32_e64 s[48:49], v172, v172                       // 0000000096DC: D0480030 000359AC
	v_add3_u32 v43, v172, v46, 1                               // 0000000096E4: D1FF002B 02065DAC
	v_cndmask_b32_e64 v50, v43, v45, s[48:49]                  // 0000000096EC: D1000032 00C25B2B
	v_cmp_u_f32_e64 s[48:49], v173, v173                       // 0000000096F4: D0480030 00035BAD
	v_add3_u32 v43, v173, v46, 1                               // 0000000096FC: D1FF002B 02065DAD
	v_cndmask_b32_e64 v51, v43, v45, s[48:49]                  // 000000009704: D1000033 00C25B2B
	v_perm_b32 v170, v51, v50, s52                             // 00000000970C: D1ED00AA 00D26533
	v_cmp_u_f32_e64 s[48:49], v174, v174                       // 000000009714: D0480030 00035DAE
	v_add3_u32 v43, v174, v46, 1                               // 00000000971C: D1FF002B 02065DAE
	v_cndmask_b32_e64 v50, v43, v45, s[48:49]                  // 000000009724: D1000032 00C25B2B
	v_cmp_u_f32_e64 s[48:49], v175, v175                       // 00000000972C: D0480030 00035FAF
	v_add3_u32 v43, v175, v46, 1                               // 000000009734: D1FF002B 02065DAF
	v_cndmask_b32_e64 v51, v43, v45, s[48:49]                  // 00000000973C: D1000033 00C25B2B
	v_perm_b32 v171, v51, v50, s52                             // 000000009744: D1ED00AB 00D26533
	v_cmp_u_f32_e64 s[48:49], v176, v176                       // 00000000974C: D0480030 000361B0
	v_add3_u32 v43, v176, v46, 1                               // 000000009754: D1FF002B 02065DB0
	v_cndmask_b32_e64 v50, v43, v45, s[48:49]                  // 00000000975C: D1000032 00C25B2B
	v_cmp_u_f32_e64 s[48:49], v177, v177                       // 000000009764: D0480030 000363B1
	v_add3_u32 v43, v177, v46, 1                               // 00000000976C: D1FF002B 02065DB1
	v_cndmask_b32_e64 v51, v43, v45, s[48:49]                  // 000000009774: D1000033 00C25B2B
	v_perm_b32 v172, v51, v50, s52                             // 00000000977C: D1ED00AC 00D26533
	v_cmp_u_f32_e64 s[48:49], v178, v178                       // 000000009784: D0480030 000365B2
	v_add3_u32 v43, v178, v46, 1                               // 00000000978C: D1FF002B 02065DB2
	v_cndmask_b32_e64 v50, v43, v45, s[48:49]                  // 000000009794: D1000032 00C25B2B
	v_cmp_u_f32_e64 s[48:49], v179, v179                       // 00000000979C: D0480030 000367B3
	v_add3_u32 v43, v179, v46, 1                               // 0000000097A4: D1FF002B 02065DB3
	v_cndmask_b32_e64 v51, v43, v45, s[48:49]                  // 0000000097AC: D1000033 00C25B2B
	v_perm_b32 v173, v51, v50, s52                             // 0000000097B4: D1ED00AD 00D26533
	v_cmp_u_f32_e64 s[48:49], v180, v180                       // 0000000097BC: D0480030 000369B4
	v_add3_u32 v43, v180, v46, 1                               // 0000000097C4: D1FF002B 02065DB4
	v_cndmask_b32_e64 v50, v43, v45, s[48:49]                  // 0000000097CC: D1000032 00C25B2B
	v_cmp_u_f32_e64 s[48:49], v181, v181                       // 0000000097D4: D0480030 00036BB5
	v_add3_u32 v43, v181, v46, 1                               // 0000000097DC: D1FF002B 02065DB5
	v_cndmask_b32_e64 v51, v43, v45, s[48:49]                  // 0000000097E4: D1000033 00C25B2B
	v_perm_b32 v174, v51, v50, s52                             // 0000000097EC: D1ED00AE 00D26533
	v_cmp_u_f32_e64 s[48:49], v182, v182                       // 0000000097F4: D0480030 00036DB6
	v_add3_u32 v43, v182, v46, 1                               // 0000000097FC: D1FF002B 02065DB6
	v_cndmask_b32_e64 v50, v43, v45, s[48:49]                  // 000000009804: D1000032 00C25B2B
	v_cmp_u_f32_e64 s[48:49], v183, v183                       // 00000000980C: D0480030 00036FB7
	v_add3_u32 v43, v183, v46, 1                               // 000000009814: D1FF002B 02065DB7
	v_cndmask_b32_e64 v51, v43, v45, s[48:49]                  // 00000000981C: D1000033 00C25B2B
	v_perm_b32 v175, v51, v50, s52                             // 000000009824: D1ED00AF 00D26533
	v_cmp_u_f32_e64 s[48:49], v184, v184                       // 00000000982C: D0480030 000371B8
	v_add3_u32 v43, v184, v46, 1                               // 000000009834: D1FF002B 02065DB8
	v_cndmask_b32_e64 v50, v43, v45, s[48:49]                  // 00000000983C: D1000032 00C25B2B
	v_cmp_u_f32_e64 s[48:49], v185, v185                       // 000000009844: D0480030 000373B9
	v_add3_u32 v43, v185, v46, 1                               // 00000000984C: D1FF002B 02065DB9
	v_cndmask_b32_e64 v51, v43, v45, s[48:49]                  // 000000009854: D1000033 00C25B2B
	v_perm_b32 v176, v51, v50, s52                             // 00000000985C: D1ED00B0 00D26533
	v_cmp_u_f32_e64 s[48:49], v186, v186                       // 000000009864: D0480030 000375BA
	v_add3_u32 v43, v186, v46, 1                               // 00000000986C: D1FF002B 02065DBA
	v_cndmask_b32_e64 v50, v43, v45, s[48:49]                  // 000000009874: D1000032 00C25B2B
	v_cmp_u_f32_e64 s[48:49], v187, v187                       // 00000000987C: D0480030 000377BB
	v_add3_u32 v43, v187, v46, 1                               // 000000009884: D1FF002B 02065DBB
	v_cndmask_b32_e64 v51, v43, v45, s[48:49]                  // 00000000988C: D1000033 00C25B2B
	v_perm_b32 v177, v51, v50, s52                             // 000000009894: D1ED00B1 00D26533
	v_cmp_u_f32_e64 s[48:49], v188, v188                       // 00000000989C: D0480030 000379BC
	v_add3_u32 v43, v188, v46, 1                               // 0000000098A4: D1FF002B 02065DBC
	v_cndmask_b32_e64 v50, v43, v45, s[48:49]                  // 0000000098AC: D1000032 00C25B2B
	v_cmp_u_f32_e64 s[48:49], v189, v189                       // 0000000098B4: D0480030 00037BBD
	v_add3_u32 v43, v189, v46, 1                               // 0000000098BC: D1FF002B 02065DBD
	v_cndmask_b32_e64 v51, v43, v45, s[48:49]                  // 0000000098C4: D1000033 00C25B2B
	v_perm_b32 v178, v51, v50, s52                             // 0000000098CC: D1ED00B2 00D26533
	v_cmp_u_f32_e64 s[48:49], v190, v190                       // 0000000098D4: D0480030 00037DBE
	v_add3_u32 v43, v190, v46, 1                               // 0000000098DC: D1FF002B 02065DBE
	v_cndmask_b32_e64 v50, v43, v45, s[48:49]                  // 0000000098E4: D1000032 00C25B2B
	v_cmp_u_f32_e64 s[48:49], v191, v191                       // 0000000098EC: D0480030 00037FBF
	v_add3_u32 v43, v191, v46, 1                               // 0000000098F4: D1FF002B 02065DBF
	v_cndmask_b32_e64 v51, v43, v45, s[48:49]                  // 0000000098FC: D1000033 00C25B2B
	v_perm_b32 v179, v51, v50, s52                             // 000000009904: D1ED00B3 00D26533
	v_cmp_u_f32_e64 s[48:49], v192, v192                       // 00000000990C: D0480030 000381C0
	v_add3_u32 v43, v192, v46, 1                               // 000000009914: D1FF002B 02065DC0
	v_cndmask_b32_e64 v50, v43, v45, s[48:49]                  // 00000000991C: D1000032 00C25B2B
	v_cmp_u_f32_e64 s[48:49], v193, v193                       // 000000009924: D0480030 000383C1
	v_add3_u32 v43, v193, v46, 1                               // 00000000992C: D1FF002B 02065DC1
	v_cndmask_b32_e64 v51, v43, v45, s[48:49]                  // 000000009934: D1000033 00C25B2B
	v_perm_b32 v180, v51, v50, s52                             // 00000000993C: D1ED00B4 00D26533
	v_cmp_u_f32_e64 s[48:49], v194, v194                       // 000000009944: D0480030 000385C2
	v_add3_u32 v43, v194, v46, 1                               // 00000000994C: D1FF002B 02065DC2
	v_cndmask_b32_e64 v50, v43, v45, s[48:49]                  // 000000009954: D1000032 00C25B2B
	v_cmp_u_f32_e64 s[48:49], v195, v195                       // 00000000995C: D0480030 000387C3
	v_add3_u32 v43, v195, v46, 1                               // 000000009964: D1FF002B 02065DC3
	v_cndmask_b32_e64 v51, v43, v45, s[48:49]                  // 00000000996C: D1000033 00C25B2B
	v_perm_b32 v181, v51, v50, s52                             // 000000009974: D1ED00B5 00D26533
	v_cmp_u_f32_e64 s[48:49], v196, v196                       // 00000000997C: D0480030 000389C4
	v_add3_u32 v43, v196, v46, 1                               // 000000009984: D1FF002B 02065DC4
	v_cndmask_b32_e64 v50, v43, v45, s[48:49]                  // 00000000998C: D1000032 00C25B2B
	v_cmp_u_f32_e64 s[48:49], v197, v197                       // 000000009994: D0480030 00038BC5
	v_add3_u32 v43, v197, v46, 1                               // 00000000999C: D1FF002B 02065DC5
	v_cndmask_b32_e64 v51, v43, v45, s[48:49]                  // 0000000099A4: D1000033 00C25B2B
	v_perm_b32 v182, v51, v50, s52                             // 0000000099AC: D1ED00B6 00D26533
	v_cmp_u_f32_e64 s[48:49], v198, v198                       // 0000000099B4: D0480030 00038DC6
	v_add3_u32 v43, v198, v46, 1                               // 0000000099BC: D1FF002B 02065DC6
	v_cndmask_b32_e64 v50, v43, v45, s[48:49]                  // 0000000099C4: D1000032 00C25B2B
	v_cmp_u_f32_e64 s[48:49], v199, v199                       // 0000000099CC: D0480030 00038FC7
	v_add3_u32 v43, v199, v46, 1                               // 0000000099D4: D1FF002B 02065DC7
	v_cndmask_b32_e64 v51, v43, v45, s[48:49]                  // 0000000099DC: D1000033 00C25B2B
	v_perm_b32 v183, v51, v50, s52                             // 0000000099E4: D1ED00B7 00D26533
	ds_write_b64 v3, v[168:169] offset:28928                   // 0000000099EC: D89A7100 0000A803
	ds_write_b64 v3, v[170:171] offset:37632                   // 0000000099F4: D89A9300 0000AA03
	ds_write_b64 v3, v[172:173] offset:31104                   // 0000000099FC: D89A7980 0000AC03
	ds_write_b64 v3, v[174:175] offset:39808                   // 000000009A04: D89A9B80 0000AE03
	ds_write_b64 v3, v[176:177] offset:33280                   // 000000009A0C: D89A8200 0000B003
	ds_write_b64 v3, v[178:179] offset:41984                   // 000000009A14: D89AA400 0000B203
	ds_write_b64 v3, v[180:181] offset:35456                   // 000000009A1C: D89A8A80 0000B403
	ds_write_b64 v3, v[182:183] offset:44160                   // 000000009A24: D89AAC80 0000B603
	s_waitcnt lgkmcnt(0)                                       // 000000009A2C: BF8CC07F
	s_barrier                                                  // 000000009A30: BF8A0000
	ds_read_b32 v64, v4 offset:28928                           // 000000009A34: D86C7100 40000004
	ds_read_b32 v65, v4 offset:33280                           // 000000009A3C: D86C8200 41000004
	ds_read_b32 v66, v4 offset:28960                           // 000000009A44: D86C7120 42000004
	ds_read_b32 v67, v4 offset:33312                           // 000000009A4C: D86C8220 43000004
	ds_read_b32 v68, v4 offset:28992                           // 000000009A54: D86C7140 44000004
	ds_read_b32 v69, v4 offset:33344                           // 000000009A5C: D86C8240 45000004
	ds_read_b32 v70, v4 offset:29024                           // 000000009A64: D86C7160 46000004
	ds_read_b32 v71, v4 offset:33376                           // 000000009A6C: D86C8260 47000004
	ds_read_b32 v72, v4 offset:37632                           // 000000009A74: D86C9300 48000004
	ds_read_b32 v73, v4 offset:41984                           // 000000009A7C: D86CA400 49000004
	ds_read_b32 v74, v4 offset:37664                           // 000000009A84: D86C9320 4A000004
	ds_read_b32 v75, v4 offset:42016                           // 000000009A8C: D86CA420 4B000004
	ds_read_b32 v76, v4 offset:37696                           // 000000009A94: D86C9340 4C000004
	ds_read_b32 v77, v4 offset:42048                           // 000000009A9C: D86CA440 4D000004
	ds_read_b32 v78, v4 offset:37728                           // 000000009AA4: D86C9360 4E000004
	ds_read_b32 v79, v4 offset:42080                           // 000000009AAC: D86CA460 4F000004
	s_waitcnt lgkmcnt(0)                                       // 000000009AB4: BF8CC07F
	s_mov_b64 exec, s[20:21]                                   // 000000009AB8: BEFE0114
	global_atomic_pk_add_bf16 v80, v64, s[8:9]                 // 000000009ABC: DD488000 00084050
	s_mov_b64 exec, s[36:37]                                   // 000000009AC4: BEFE0124
	s_mov_b64 exec, s[20:21]                                   // 000000009AC8: BEFE0114
	global_atomic_pk_add_bf16 v80, v65, s[8:9] offset:256      // 000000009ACC: DD488100 00084150
	s_mov_b64 exec, s[36:37]                                   // 000000009AD4: BEFE0124
	s_mov_b64 exec, s[22:23]                                   // 000000009AD8: BEFE0116
	global_atomic_pk_add_bf16 v82, v66, s[8:9]                 // 000000009ADC: DD488000 00084252
	s_mov_b64 exec, s[36:37]                                   // 000000009AE4: BEFE0124
	s_mov_b64 exec, s[22:23]                                   // 000000009AE8: BEFE0116
	global_atomic_pk_add_bf16 v82, v67, s[8:9] offset:256      // 000000009AEC: DD488100 00084352
	s_mov_b64 exec, s[36:37]                                   // 000000009AF4: BEFE0124
	s_mov_b64 exec, s[24:25]                                   // 000000009AF8: BEFE0118
	global_atomic_pk_add_bf16 v84, v68, s[8:9]                 // 000000009AFC: DD488000 00084454
	s_mov_b64 exec, s[36:37]                                   // 000000009B04: BEFE0124
	s_mov_b64 exec, s[24:25]                                   // 000000009B08: BEFE0118
	global_atomic_pk_add_bf16 v84, v69, s[8:9] offset:256      // 000000009B0C: DD488100 00084554
	s_mov_b64 exec, s[36:37]                                   // 000000009B14: BEFE0124
	s_mov_b64 exec, s[26:27]                                   // 000000009B18: BEFE011A
	global_atomic_pk_add_bf16 v86, v70, s[8:9]                 // 000000009B1C: DD488000 00084656
	s_mov_b64 exec, s[36:37]                                   // 000000009B24: BEFE0124
	s_mov_b64 exec, s[26:27]                                   // 000000009B28: BEFE011A
	global_atomic_pk_add_bf16 v86, v71, s[8:9] offset:256      // 000000009B2C: DD488100 00084756
	s_mov_b64 exec, s[36:37]                                   // 000000009B34: BEFE0124
	s_mov_b64 exec, s[28:29]                                   // 000000009B38: BEFE011C
	global_atomic_pk_add_bf16 v88, v72, s[8:9]                 // 000000009B3C: DD488000 00084858
	s_mov_b64 exec, s[36:37]                                   // 000000009B44: BEFE0124
	s_mov_b64 exec, s[28:29]                                   // 000000009B48: BEFE011C
	global_atomic_pk_add_bf16 v88, v73, s[8:9] offset:256      // 000000009B4C: DD488100 00084958
	s_mov_b64 exec, s[36:37]                                   // 000000009B54: BEFE0124
	s_mov_b64 exec, s[30:31]                                   // 000000009B58: BEFE011E
	global_atomic_pk_add_bf16 v90, v74, s[8:9]                 // 000000009B5C: DD488000 00084A5A
	s_mov_b64 exec, s[36:37]                                   // 000000009B64: BEFE0124
	s_mov_b64 exec, s[30:31]                                   // 000000009B68: BEFE011E
	global_atomic_pk_add_bf16 v90, v75, s[8:9] offset:256      // 000000009B6C: DD488100 00084B5A
	s_mov_b64 exec, s[36:37]                                   // 000000009B74: BEFE0124
	s_mov_b64 exec, s[32:33]                                   // 000000009B78: BEFE0120
	global_atomic_pk_add_bf16 v92, v76, s[8:9]                 // 000000009B7C: DD488000 00084C5C
	s_mov_b64 exec, s[36:37]                                   // 000000009B84: BEFE0124
	s_mov_b64 exec, s[32:33]                                   // 000000009B88: BEFE0120
	global_atomic_pk_add_bf16 v92, v77, s[8:9] offset:256      // 000000009B8C: DD488100 00084D5C
	s_mov_b64 exec, s[36:37]                                   // 000000009B94: BEFE0124
	s_mov_b64 exec, s[34:35]                                   // 000000009B98: BEFE0122
	global_atomic_pk_add_bf16 v94, v78, s[8:9]                 // 000000009B9C: DD488000 00084E5E
	s_mov_b64 exec, s[36:37]                                   // 000000009BA4: BEFE0124
	s_mov_b64 exec, s[34:35]                                   // 000000009BA8: BEFE0122
	global_atomic_pk_add_bf16 v94, v79, s[8:9] offset:256      // 000000009BAC: DD488100 00084F5E
	s_mov_b64 exec, s[36:37]                                   // 000000009BB4: BEFE0124
	s_add_u32 s8, s59, s8                                      // 000000009BB8: 8008083B
	s_addc_u32 s9, 0, s9                                       // 000000009BBC: 82090980
	s_addk_i32 s80, 0x100                                      // 000000009BC0: B7500100
	s_cmp_lt_i32 s80, s81                                      // 000000009BC4: BF045150
	s_cbranch_scc0 label_10B4                                  // 000000009BC8: BF84F481
	s_waitcnt vmcnt(33)                                        // 000000009BCC: BF8C8F71
	s_barrier                                                  // 000000009BD0: BF8A0000
	v_mfma_i32_16x16x32_i8 v[200:203], a[80:81], v[128:129], 0 // 000000009BD4: D3D700C8 0A030150
	buffer_load_dwordx4 a[0:3], v39, s[12:15], 0 offen         // 000000009BDC: E05C1000 80830027
	v_mfma_i32_16x16x32_i8 v[200:203], a[82:83], v[130:131], v[200:203]// 000000009BE4: D3D700C8 0F230552
	v_mfma_i32_16x16x32_i8 v[204:207], a[80:81], v[148:149], 0 // 000000009BEC: D3D700CC 0A032950
	v_mfma_i32_16x16x32_i8 v[204:207], a[82:83], v[150:151], v[204:207]// 000000009BF4: D3D700CC 0F332D52
	v_mfma_i32_16x16x32_i8 v[208:211], a[84:85], v[128:129], 0 // 000000009BFC: D3D700D0 0A030154
	buffer_load_dwordx4 a[4:7], v40, s[12:15], 0 offen         // 000000009C04: E05C1000 80830428
	v_mfma_i32_16x16x32_i8 v[208:211], a[86:87], v[130:131], v[208:211]// 000000009C0C: D3D700D0 0F430556
	v_mfma_i32_16x16x32_i8 v[212:215], a[84:85], v[148:149], 0 // 000000009C14: D3D700D4 0A032954
	v_mfma_i32_16x16x32_i8 v[212:215], a[86:87], v[150:151], v[212:215]// 000000009C1C: D3D700D4 0F532D56
	v_mfma_i32_16x16x32_i8 v[216:219], a[88:89], v[128:129], 0 // 000000009C24: D3D700D8 0A030158
	buffer_load_dwordx4 a[8:11], v41, s[12:15], 0 offen        // 000000009C2C: E05C1000 80830829
	v_mfma_i32_16x16x32_i8 v[216:219], a[90:91], v[130:131], v[216:219]// 000000009C34: D3D700D8 0F63055A
	v_mfma_i32_16x16x32_i8 v[220:223], a[88:89], v[148:149], 0 // 000000009C3C: D3D700DC 0A032958
	v_mfma_i32_16x16x32_i8 v[220:223], a[90:91], v[150:151], v[220:223]// 000000009C44: D3D700DC 0F732D5A
	v_mfma_i32_16x16x32_i8 v[224:227], a[92:93], v[128:129], 0 // 000000009C4C: D3D700E0 0A03015C
	buffer_load_dwordx4 a[12:15], v42, s[12:15], 0 offen       // 000000009C54: E05C1000 80830C2A
	s_add_u32 s12, s78, s12                                    // 000000009C5C: 800C0C4E
	s_addc_u32 s13, 0, s13                                     // 000000009C60: 820D0D80
	v_mfma_i32_16x16x32_i8 v[224:227], a[94:95], v[130:131], v[224:227]// 000000009C64: D3D700E0 0F83055E
	v_mfma_i32_16x16x32_i8 v[228:231], a[92:93], v[148:149], 0 // 000000009C6C: D3D700E4 0A03295C
	v_mfma_i32_16x16x32_i8 v[228:231], a[94:95], v[150:151], v[228:231]// 000000009C74: D3D700E4 0F932D5E
	s_waitcnt vmcnt(33)                                        // 000000009C7C: BF8C8F71
	v_mfma_i32_16x16x32_i8 v[200:203], a[96:97], v[132:133], v[200:203]// 000000009C80: D3D700C8 0F230960
	buffer_load_dwordx4 a[16:19], v39, s[12:15], 0 offen       // 000000009C88: E05C1000 80831027
	v_mfma_i32_16x16x32_i8 v[200:203], a[98:99], v[134:135], v[200:203]// 000000009C90: D3D700C8 0F230D62
	v_mfma_i32_16x16x32_i8 v[204:207], a[96:97], v[152:153], v[204:207]// 000000009C98: D3D700CC 0F333160
	v_mfma_i32_16x16x32_i8 v[204:207], a[98:99], v[154:155], v[204:207]// 000000009CA0: D3D700CC 0F333562
	v_mfma_i32_16x16x32_i8 v[208:211], a[100:101], v[132:133], v[208:211]// 000000009CA8: D3D700D0 0F430964
	buffer_load_dwordx4 a[20:23], v40, s[12:15], 0 offen       // 000000009CB0: E05C1000 80831428
	v_mfma_i32_16x16x32_i8 v[208:211], a[102:103], v[134:135], v[208:211]// 000000009CB8: D3D700D0 0F430D66
	v_mfma_i32_16x16x32_i8 v[212:215], a[100:101], v[152:153], v[212:215]// 000000009CC0: D3D700D4 0F533164
	v_mfma_i32_16x16x32_i8 v[212:215], a[102:103], v[154:155], v[212:215]// 000000009CC8: D3D700D4 0F533566
	v_mfma_i32_16x16x32_i8 v[216:219], a[104:105], v[132:133], v[216:219]// 000000009CD0: D3D700D8 0F630968
	buffer_load_dwordx4 a[24:27], v41, s[12:15], 0 offen       // 000000009CD8: E05C1000 80831829
	v_mfma_i32_16x16x32_i8 v[216:219], a[106:107], v[134:135], v[216:219]// 000000009CE0: D3D700D8 0F630D6A
	v_mfma_i32_16x16x32_i8 v[220:223], a[104:105], v[152:153], v[220:223]// 000000009CE8: D3D700DC 0F733168
	v_mfma_i32_16x16x32_i8 v[220:223], a[106:107], v[154:155], v[220:223]// 000000009CF0: D3D700DC 0F73356A
	v_mfma_i32_16x16x32_i8 v[224:227], a[108:109], v[132:133], v[224:227]// 000000009CF8: D3D700E0 0F83096C
	buffer_load_dwordx4 a[28:31], v42, s[12:15], 0 offen       // 000000009D00: E05C1000 80831C2A
	s_add_u32 s12, s78, s12                                    // 000000009D08: 800C0C4E
	s_addc_u32 s13, 0, s13                                     // 000000009D0C: 820D0D80
	v_mfma_i32_16x16x32_i8 v[224:227], a[110:111], v[134:135], v[224:227]// 000000009D10: D3D700E0 0F830D6E
	v_mfma_i32_16x16x32_i8 v[228:231], a[108:109], v[152:153], v[228:231]// 000000009D18: D3D700E4 0F93316C
	v_mfma_i32_16x16x32_i8 v[228:231], a[110:111], v[154:155], v[228:231]// 000000009D20: D3D700E4 0F93356E
	s_waitcnt vmcnt(33)                                        // 000000009D28: BF8C8F71
	v_mfma_i32_16x16x32_i8 v[200:203], a[112:113], v[136:137], v[200:203]// 000000009D2C: D3D700C8 0F231170
	buffer_load_dwordx4 a[32:35], v39, s[12:15], 0 offen       // 000000009D34: E05C1000 80832027
	v_mfma_i32_16x16x32_i8 v[200:203], a[114:115], v[138:139], v[200:203]// 000000009D3C: D3D700C8 0F231572
	v_mfma_i32_16x16x32_i8 v[204:207], a[112:113], v[156:157], v[204:207]// 000000009D44: D3D700CC 0F333970
	v_mfma_i32_16x16x32_i8 v[204:207], a[114:115], v[158:159], v[204:207]// 000000009D4C: D3D700CC 0F333D72
	v_mfma_i32_16x16x32_i8 v[208:211], a[116:117], v[136:137], v[208:211]// 000000009D54: D3D700D0 0F431174
	buffer_load_dwordx4 a[36:39], v40, s[12:15], 0 offen       // 000000009D5C: E05C1000 80832428
	v_mfma_i32_16x16x32_i8 v[208:211], a[118:119], v[138:139], v[208:211]// 000000009D64: D3D700D0 0F431576
	v_mfma_i32_16x16x32_i8 v[212:215], a[116:117], v[156:157], v[212:215]// 000000009D6C: D3D700D4 0F533974
	v_mfma_i32_16x16x32_i8 v[212:215], a[118:119], v[158:159], v[212:215]// 000000009D74: D3D700D4 0F533D76
	v_mfma_i32_16x16x32_i8 v[216:219], a[120:121], v[136:137], v[216:219]// 000000009D7C: D3D700D8 0F631178
	buffer_load_dwordx4 a[40:43], v41, s[12:15], 0 offen       // 000000009D84: E05C1000 80832829
	v_mfma_i32_16x16x32_i8 v[216:219], a[122:123], v[138:139], v[216:219]// 000000009D8C: D3D700D8 0F63157A
	v_mfma_i32_16x16x32_i8 v[220:223], a[120:121], v[156:157], v[220:223]// 000000009D94: D3D700DC 0F733978
	v_mfma_i32_16x16x32_i8 v[220:223], a[122:123], v[158:159], v[220:223]// 000000009D9C: D3D700DC 0F733D7A
	v_mfma_i32_16x16x32_i8 v[224:227], a[124:125], v[136:137], v[224:227]// 000000009DA4: D3D700E0 0F83117C
	buffer_load_dwordx4 a[44:47], v42, s[12:15], 0 offen       // 000000009DAC: E05C1000 80832C2A
	s_add_u32 s12, s78, s12                                    // 000000009DB4: 800C0C4E
	s_addc_u32 s13, 0, s13                                     // 000000009DB8: 820D0D80
	v_mfma_i32_16x16x32_i8 v[224:227], a[126:127], v[138:139], v[224:227]// 000000009DBC: D3D700E0 0F83157E
	v_mfma_i32_16x16x32_i8 v[228:231], a[124:125], v[156:157], v[228:231]// 000000009DC4: D3D700E4 0F93397C
	v_mfma_i32_16x16x32_i8 v[228:231], a[126:127], v[158:159], v[228:231]// 000000009DCC: D3D700E4 0F933D7E
	s_waitcnt vmcnt(33)                                        // 000000009DD4: BF8C8F71
	v_mfma_i32_16x16x32_i8 v[200:203], a[128:129], v[140:141], v[200:203]// 000000009DD8: D3D700C8 0F231980
	buffer_load_dwordx4 a[48:51], v39, s[12:15], 0 offen       // 000000009DE0: E05C1000 80833027
	v_mfma_i32_16x16x32_i8 v[200:203], a[130:131], v[142:143], v[200:203]// 000000009DE8: D3D700C8 0F231D82
	v_mfma_i32_16x16x32_i8 v[204:207], a[128:129], v[160:161], v[204:207]// 000000009DF0: D3D700CC 0F334180
	v_mfma_i32_16x16x32_i8 v[204:207], a[130:131], v[162:163], v[204:207]// 000000009DF8: D3D700CC 0F334582
	v_mfma_i32_16x16x32_i8 v[208:211], a[132:133], v[140:141], v[208:211]// 000000009E00: D3D700D0 0F431984
	buffer_load_dwordx4 a[52:55], v40, s[12:15], 0 offen       // 000000009E08: E05C1000 80833428
	v_mfma_i32_16x16x32_i8 v[208:211], a[134:135], v[142:143], v[208:211]// 000000009E10: D3D700D0 0F431D86
	v_mfma_i32_16x16x32_i8 v[212:215], a[132:133], v[160:161], v[212:215]// 000000009E18: D3D700D4 0F534184
	v_mfma_i32_16x16x32_i8 v[212:215], a[134:135], v[162:163], v[212:215]// 000000009E20: D3D700D4 0F534586
	v_mfma_i32_16x16x32_i8 v[216:219], a[136:137], v[140:141], v[216:219]// 000000009E28: D3D700D8 0F631988
	buffer_load_dwordx4 a[56:59], v41, s[12:15], 0 offen       // 000000009E30: E05C1000 80833829
	v_mfma_i32_16x16x32_i8 v[216:219], a[138:139], v[142:143], v[216:219]// 000000009E38: D3D700D8 0F631D8A
	v_mfma_i32_16x16x32_i8 v[220:223], a[136:137], v[160:161], v[220:223]// 000000009E40: D3D700DC 0F734188
	v_mfma_i32_16x16x32_i8 v[220:223], a[138:139], v[162:163], v[220:223]// 000000009E48: D3D700DC 0F73458A
	v_mfma_i32_16x16x32_i8 v[224:227], a[140:141], v[140:141], v[224:227]// 000000009E50: D3D700E0 0F83198C
	buffer_load_dwordx4 a[60:63], v42, s[12:15], 0 offen       // 000000009E58: E05C1000 80833C2A
	s_add_u32 s12, s78, s12                                    // 000000009E60: 800C0C4E
	s_addc_u32 s13, 0, s13                                     // 000000009E64: 820D0D80
	v_mfma_i32_16x16x32_i8 v[224:227], a[142:143], v[142:143], v[224:227]// 000000009E68: D3D700E0 0F831D8E
	v_mfma_i32_16x16x32_i8 v[228:231], a[140:141], v[160:161], v[228:231]// 000000009E70: D3D700E4 0F93418C
	v_mfma_i32_16x16x32_i8 v[228:231], a[142:143], v[162:163], v[228:231]// 000000009E78: D3D700E4 0F93458E
	s_waitcnt vmcnt(32)                                        // 000000009E80: BF8C8F70
	v_mfma_i32_16x16x32_i8 v[200:203], a[144:145], v[144:145], v[200:203]// 000000009E84: D3D700C8 0F232190
	buffer_load_dwordx4 a[64:67], v39, s[12:15], 0 offen       // 000000009E8C: E05C1000 80834027
	v_mfma_i32_16x16x32_i8 v[200:203], a[146:147], v[146:147], v[200:203]// 000000009E94: D3D700C8 0F232592
	v_mfma_i32_16x16x32_i8 v[204:207], a[144:145], v[164:165], v[204:207]// 000000009E9C: D3D700CC 0F334990
	buffer_load_dword v12, v5, s[16:19], 0 offen               // 000000009EA4: E0501000 80040C05
	v_mfma_i32_16x16x32_i8 v[204:207], a[146:147], v[166:167], v[204:207]// 000000009EAC: D3D700CC 0F334D92
	v_mfma_i32_16x16x32_i8 v[208:211], a[148:149], v[144:145], v[208:211]// 000000009EB4: D3D700D0 0F432194
	buffer_load_dwordx4 a[68:71], v40, s[12:15], 0 offen       // 000000009EBC: E05C1000 80834428
	v_mfma_i32_16x16x32_i8 v[208:211], a[150:151], v[146:147], v[208:211]// 000000009EC4: D3D700D0 0F432596
	v_mfma_i32_16x16x32_i8 v[212:215], a[148:149], v[164:165], v[212:215]// 000000009ECC: D3D700D4 0F534994
	v_mfma_i32_16x16x32_i8 v[212:215], a[150:151], v[166:167], v[212:215]// 000000009ED4: D3D700D4 0F534D96
	v_mfma_i32_16x16x32_i8 v[216:219], a[152:153], v[144:145], v[216:219]// 000000009EDC: D3D700D8 0F632198
	buffer_load_dwordx4 a[72:75], v41, s[12:15], 0 offen       // 000000009EE4: E05C1000 80834829
	v_mfma_i32_16x16x32_i8 v[216:219], a[154:155], v[146:147], v[216:219]// 000000009EEC: D3D700D8 0F63259A
	v_mfma_i32_16x16x32_i8 v[220:223], a[152:153], v[164:165], v[220:223]// 000000009EF4: D3D700DC 0F734998
	v_mfma_i32_16x16x32_i8 v[220:223], a[154:155], v[166:167], v[220:223]// 000000009EFC: D3D700DC 0F734D9A
	v_mfma_i32_16x16x32_i8 v[224:227], a[156:157], v[144:145], v[224:227]// 000000009F04: D3D700E0 0F83219C
	buffer_load_dwordx4 a[76:79], v42, s[12:15], 0 offen       // 000000009F0C: E05C1000 80834C2A
	v_mfma_i32_16x16x32_i8 v[224:227], a[158:159], v[146:147], v[224:227]// 000000009F14: D3D700E0 0F83259E
	v_mfma_i32_16x16x32_i8 v[228:231], a[156:157], v[164:165], v[228:231]// 000000009F1C: D3D700E4 0F93499C
	v_mfma_i32_16x16x32_i8 v[228:231], a[158:159], v[166:167], v[228:231]// 000000009F24: D3D700E4 0F934D9E
	s_add_u32 s60, 0x200, s80                                  // 000000009F2C: 803C50FF 00000200
	s_cmp_lt_u32 s60, s81                                      // 000000009F34: BF0A513C
	s_cselect_b32 s56, s56, 0                                  // 000000009F38: 85388038
	s_cselect_b32 s78, s78, 0                                  // 000000009F3C: 854E804E
	s_cselect_b32 s79, s79, 0                                  // 000000009F40: 854F804F
	s_add_u32 s12, s56, s12                                    // 000000009F44: 800C0C38
	s_addc_u32 s13, 0, s13                                     // 000000009F48: 820D0D80
	s_add_u32 s16, s79, s16                                    // 000000009F4C: 8010104F
	s_addc_u32 s17, 0, s17                                     // 000000009F50: 82111180
	v_cvt_f32_i32_e32 v200, v200                               // 000000009F54: 7F900BC8
	v_cvt_f32_i32_e32 v201, v201                               // 000000009F58: 7F920BC9
	v_cvt_f32_i32_e32 v202, v202                               // 000000009F5C: 7F940BCA
	v_cvt_f32_i32_e32 v203, v203                               // 000000009F60: 7F960BCB
	v_mul_f32_e32 v200, v24, v200                              // 000000009F64: 0B919118
	v_mul_f32_e32 v201, v24, v201                              // 000000009F68: 0B939318
	v_mul_f32_e32 v202, v24, v202                              // 000000009F6C: 0B959518
	v_mul_f32_e32 v203, v24, v203                              // 000000009F70: 0B979718
	v_mul_f32_dpp v200, v13, v200 row_newbcast:0 row_mask:0xf bank_mask:0xf// 000000009F74: 0B9190FA FF01500D
	v_mul_f32_dpp v201, v13, v201 row_newbcast:1 row_mask:0xf bank_mask:0xf// 000000009F7C: 0B9392FA FF01510D
	v_mul_f32_dpp v202, v13, v202 row_newbcast:2 row_mask:0xf bank_mask:0xf// 000000009F84: 0B9594FA FF01520D
	v_mul_f32_dpp v203, v13, v203 row_newbcast:3 row_mask:0xf bank_mask:0xf// 000000009F8C: 0B9796FA FF01530D
	v_mul_f32_e32 v200, v20, v200                              // 000000009F94: 0B919114
	v_mul_f32_e32 v201, v20, v201                              // 000000009F98: 0B939314
	v_mul_f32_e32 v202, v20, v202                              // 000000009F9C: 0B959514
	v_mul_f32_e32 v203, v20, v203                              // 000000009FA0: 0B979714
	v_cvt_f32_i32_e32 v204, v204                               // 000000009FA4: 7F980BCC
	v_cvt_f32_i32_e32 v205, v205                               // 000000009FA8: 7F9A0BCD
	v_cvt_f32_i32_e32 v206, v206                               // 000000009FAC: 7F9C0BCE
	v_cvt_f32_i32_e32 v207, v207                               // 000000009FB0: 7F9E0BCF
	v_mul_f32_e32 v204, v25, v204                              // 000000009FB4: 0B999919
	v_mul_f32_e32 v205, v25, v205                              // 000000009FB8: 0B9B9B19
	v_mul_f32_e32 v206, v25, v206                              // 000000009FBC: 0B9D9D19
	v_mul_f32_e32 v207, v25, v207                              // 000000009FC0: 0B9F9F19
	v_mul_f32_dpp v204, v13, v204 row_newbcast:0 row_mask:0xf bank_mask:0xf// 000000009FC4: 0B9998FA FF01500D
	v_mul_f32_dpp v205, v13, v205 row_newbcast:1 row_mask:0xf bank_mask:0xf// 000000009FCC: 0B9B9AFA FF01510D
	v_mul_f32_dpp v206, v13, v206 row_newbcast:2 row_mask:0xf bank_mask:0xf// 000000009FD4: 0B9D9CFA FF01520D
	v_mul_f32_dpp v207, v13, v207 row_newbcast:3 row_mask:0xf bank_mask:0xf// 000000009FDC: 0B9F9EFA FF01530D
	v_mul_f32_e32 v204, v21, v204                              // 000000009FE4: 0B999915
	v_mul_f32_e32 v205, v21, v205                              // 000000009FE8: 0B9B9B15
	v_mul_f32_e32 v206, v21, v206                              // 000000009FEC: 0B9D9D15
	v_mul_f32_e32 v207, v21, v207                              // 000000009FF0: 0B9F9F15
	v_cvt_f32_i32_e32 v208, v208                               // 000000009FF4: 7FA00BD0
	v_cvt_f32_i32_e32 v209, v209                               // 000000009FF8: 7FA20BD1
	v_cvt_f32_i32_e32 v210, v210                               // 000000009FFC: 7FA40BD2
	v_cvt_f32_i32_e32 v211, v211                               // 00000000A000: 7FA60BD3
	v_mul_f32_e32 v208, v24, v208                              // 00000000A004: 0BA1A118
	v_mul_f32_e32 v209, v24, v209                              // 00000000A008: 0BA3A318
	v_mul_f32_e32 v210, v24, v210                              // 00000000A00C: 0BA5A518
	v_mul_f32_e32 v211, v24, v211                              // 00000000A010: 0BA7A718
	v_mul_f32_dpp v208, v13, v208 row_newbcast:4 row_mask:0xf bank_mask:0xf// 00000000A014: 0BA1A0FA FF01540D
	v_mul_f32_dpp v209, v13, v209 row_newbcast:5 row_mask:0xf bank_mask:0xf// 00000000A01C: 0BA3A2FA FF01550D
	v_mul_f32_dpp v210, v13, v210 row_newbcast:6 row_mask:0xf bank_mask:0xf// 00000000A024: 0BA5A4FA FF01560D
	v_mul_f32_dpp v211, v13, v211 row_newbcast:7 row_mask:0xf bank_mask:0xf// 00000000A02C: 0BA7A6FA FF01570D
	v_mul_f32_e32 v208, v20, v208                              // 00000000A034: 0BA1A114
	v_mul_f32_e32 v209, v20, v209                              // 00000000A038: 0BA3A314
	v_mul_f32_e32 v210, v20, v210                              // 00000000A03C: 0BA5A514
	v_mul_f32_e32 v211, v20, v211                              // 00000000A040: 0BA7A714
	v_cvt_f32_i32_e32 v212, v212                               // 00000000A044: 7FA80BD4
	v_cvt_f32_i32_e32 v213, v213                               // 00000000A048: 7FAA0BD5
	v_cvt_f32_i32_e32 v214, v214                               // 00000000A04C: 7FAC0BD6
	v_cvt_f32_i32_e32 v215, v215                               // 00000000A050: 7FAE0BD7
	v_mul_f32_e32 v212, v25, v212                              // 00000000A054: 0BA9A919
	v_mul_f32_e32 v213, v25, v213                              // 00000000A058: 0BABAB19
	v_mul_f32_e32 v214, v25, v214                              // 00000000A05C: 0BADAD19
	v_mul_f32_e32 v215, v25, v215                              // 00000000A060: 0BAFAF19
	v_mul_f32_dpp v212, v13, v212 row_newbcast:4 row_mask:0xf bank_mask:0xf// 00000000A064: 0BA9A8FA FF01540D
	v_mul_f32_dpp v213, v13, v213 row_newbcast:5 row_mask:0xf bank_mask:0xf// 00000000A06C: 0BABAAFA FF01550D
	v_mul_f32_dpp v214, v13, v214 row_newbcast:6 row_mask:0xf bank_mask:0xf// 00000000A074: 0BADACFA FF01560D
	v_mul_f32_dpp v215, v13, v215 row_newbcast:7 row_mask:0xf bank_mask:0xf// 00000000A07C: 0BAFAEFA FF01570D
	v_mul_f32_e32 v212, v21, v212                              // 00000000A084: 0BA9A915
	v_mul_f32_e32 v213, v21, v213                              // 00000000A088: 0BABAB15
	v_mul_f32_e32 v214, v21, v214                              // 00000000A08C: 0BADAD15
	v_mul_f32_e32 v215, v21, v215                              // 00000000A090: 0BAFAF15
	v_cvt_f32_i32_e32 v216, v216                               // 00000000A094: 7FB00BD8
	v_cvt_f32_i32_e32 v217, v217                               // 00000000A098: 7FB20BD9
	v_cvt_f32_i32_e32 v218, v218                               // 00000000A09C: 7FB40BDA
	v_cvt_f32_i32_e32 v219, v219                               // 00000000A0A0: 7FB60BDB
	v_mul_f32_e32 v216, v24, v216                              // 00000000A0A4: 0BB1B118
	v_mul_f32_e32 v217, v24, v217                              // 00000000A0A8: 0BB3B318
	v_mul_f32_e32 v218, v24, v218                              // 00000000A0AC: 0BB5B518
	v_mul_f32_e32 v219, v24, v219                              // 00000000A0B0: 0BB7B718
	v_mul_f32_dpp v216, v13, v216 row_newbcast:8 row_mask:0xf bank_mask:0xf// 00000000A0B4: 0BB1B0FA FF01580D
	v_mul_f32_dpp v217, v13, v217 row_newbcast:9 row_mask:0xf bank_mask:0xf// 00000000A0BC: 0BB3B2FA FF01590D
	v_mul_f32_dpp v218, v13, v218 row_newbcast:10 row_mask:0xf bank_mask:0xf// 00000000A0C4: 0BB5B4FA FF015A0D
	v_mul_f32_dpp v219, v13, v219 row_newbcast:11 row_mask:0xf bank_mask:0xf// 00000000A0CC: 0BB7B6FA FF015B0D
	v_mul_f32_e32 v216, v20, v216                              // 00000000A0D4: 0BB1B114
	v_mul_f32_e32 v217, v20, v217                              // 00000000A0D8: 0BB3B314
	v_mul_f32_e32 v218, v20, v218                              // 00000000A0DC: 0BB5B514
	v_mul_f32_e32 v219, v20, v219                              // 00000000A0E0: 0BB7B714
	v_cvt_f32_i32_e32 v220, v220                               // 00000000A0E4: 7FB80BDC
	v_cvt_f32_i32_e32 v221, v221                               // 00000000A0E8: 7FBA0BDD
	v_cvt_f32_i32_e32 v222, v222                               // 00000000A0EC: 7FBC0BDE
	v_cvt_f32_i32_e32 v223, v223                               // 00000000A0F0: 7FBE0BDF
	v_mul_f32_e32 v220, v25, v220                              // 00000000A0F4: 0BB9B919
	v_mul_f32_e32 v221, v25, v221                              // 00000000A0F8: 0BBBBB19
	v_mul_f32_e32 v222, v25, v222                              // 00000000A0FC: 0BBDBD19
	v_mul_f32_e32 v223, v25, v223                              // 00000000A100: 0BBFBF19
	v_mul_f32_dpp v220, v13, v220 row_newbcast:8 row_mask:0xf bank_mask:0xf// 00000000A104: 0BB9B8FA FF01580D
	v_mul_f32_dpp v221, v13, v221 row_newbcast:9 row_mask:0xf bank_mask:0xf// 00000000A10C: 0BBBBAFA FF01590D
	v_mul_f32_dpp v222, v13, v222 row_newbcast:10 row_mask:0xf bank_mask:0xf// 00000000A114: 0BBDBCFA FF015A0D
	v_mul_f32_dpp v223, v13, v223 row_newbcast:11 row_mask:0xf bank_mask:0xf// 00000000A11C: 0BBFBEFA FF015B0D
	v_mul_f32_e32 v220, v21, v220                              // 00000000A124: 0BB9B915
	v_mul_f32_e32 v221, v21, v221                              // 00000000A128: 0BBBBB15
	v_mul_f32_e32 v222, v21, v222                              // 00000000A12C: 0BBDBD15
	v_mul_f32_e32 v223, v21, v223                              // 00000000A130: 0BBFBF15
	v_cvt_f32_i32_e32 v224, v224                               // 00000000A134: 7FC00BE0
	v_cvt_f32_i32_e32 v225, v225                               // 00000000A138: 7FC20BE1
	v_cvt_f32_i32_e32 v226, v226                               // 00000000A13C: 7FC40BE2
	v_cvt_f32_i32_e32 v227, v227                               // 00000000A140: 7FC60BE3
	v_mul_f32_e32 v224, v24, v224                              // 00000000A144: 0BC1C118
	v_mul_f32_e32 v225, v24, v225                              // 00000000A148: 0BC3C318
	v_mul_f32_e32 v226, v24, v226                              // 00000000A14C: 0BC5C518
	v_mul_f32_e32 v227, v24, v227                              // 00000000A150: 0BC7C718
	v_mul_f32_dpp v224, v13, v224 row_newbcast:12 row_mask:0xf bank_mask:0xf// 00000000A154: 0BC1C0FA FF015C0D
	v_mul_f32_dpp v225, v13, v225 row_newbcast:13 row_mask:0xf bank_mask:0xf// 00000000A15C: 0BC3C2FA FF015D0D
	v_mul_f32_dpp v226, v13, v226 row_newbcast:14 row_mask:0xf bank_mask:0xf// 00000000A164: 0BC5C4FA FF015E0D
	v_mul_f32_dpp v227, v13, v227 row_newbcast:15 row_mask:0xf bank_mask:0xf// 00000000A16C: 0BC7C6FA FF015F0D
	v_mul_f32_e32 v224, v20, v224                              // 00000000A174: 0BC1C114
	v_mul_f32_e32 v225, v20, v225                              // 00000000A178: 0BC3C314
	v_mul_f32_e32 v226, v20, v226                              // 00000000A17C: 0BC5C514
	v_mul_f32_e32 v227, v20, v227                              // 00000000A180: 0BC7C714
	v_cvt_f32_i32_e32 v228, v228                               // 00000000A184: 7FC80BE4
	v_cvt_f32_i32_e32 v229, v229                               // 00000000A188: 7FCA0BE5
	v_cvt_f32_i32_e32 v230, v230                               // 00000000A18C: 7FCC0BE6
	v_cvt_f32_i32_e32 v231, v231                               // 00000000A190: 7FCE0BE7
	v_mul_f32_e32 v228, v25, v228                              // 00000000A194: 0BC9C919
	v_mul_f32_e32 v229, v25, v229                              // 00000000A198: 0BCBCB19
	v_mul_f32_e32 v230, v25, v230                              // 00000000A19C: 0BCDCD19
	v_mul_f32_e32 v231, v25, v231                              // 00000000A1A0: 0BCFCF19
	v_mul_f32_dpp v228, v13, v228 row_newbcast:12 row_mask:0xf bank_mask:0xf// 00000000A1A4: 0BC9C8FA FF015C0D
	v_mul_f32_dpp v229, v13, v229 row_newbcast:13 row_mask:0xf bank_mask:0xf// 00000000A1AC: 0BCBCAFA FF015D0D
	v_mul_f32_dpp v230, v13, v230 row_newbcast:14 row_mask:0xf bank_mask:0xf// 00000000A1B4: 0BCDCCFA FF015E0D
	v_mul_f32_dpp v231, v13, v231 row_newbcast:15 row_mask:0xf bank_mask:0xf// 00000000A1BC: 0BCFCEFA FF015F0D
	v_mul_f32_e32 v228, v21, v228                              // 00000000A1C4: 0BC9C915
	v_mul_f32_e32 v229, v21, v229                              // 00000000A1C8: 0BCBCB15
	v_mul_f32_e32 v230, v21, v230                              // 00000000A1CC: 0BCDCD15
	v_mul_f32_e32 v231, v21, v231                              // 00000000A1D0: 0BCFCF15
	v_cmp_u_f32_e64 s[48:49], v200, v200                       // 00000000A1D4: D0480030 000391C8
	v_add3_u32 v43, v200, v46, 1                               // 00000000A1DC: D1FF002B 02065DC8
	v_cndmask_b32_e64 v50, v43, v45, s[48:49]                  // 00000000A1E4: D1000032 00C25B2B
	v_cmp_u_f32_e64 s[48:49], v201, v201                       // 00000000A1EC: D0480030 000393C9
	v_add3_u32 v43, v201, v46, 1                               // 00000000A1F4: D1FF002B 02065DC9
	v_cndmask_b32_e64 v51, v43, v45, s[48:49]                  // 00000000A1FC: D1000033 00C25B2B
	v_perm_b32 v200, v51, v50, s52                             // 00000000A204: D1ED00C8 00D26533
	v_cmp_u_f32_e64 s[48:49], v202, v202                       // 00000000A20C: D0480030 000395CA
	v_add3_u32 v43, v202, v46, 1                               // 00000000A214: D1FF002B 02065DCA
	v_cndmask_b32_e64 v50, v43, v45, s[48:49]                  // 00000000A21C: D1000032 00C25B2B
	v_cmp_u_f32_e64 s[48:49], v203, v203                       // 00000000A224: D0480030 000397CB
	v_add3_u32 v43, v203, v46, 1                               // 00000000A22C: D1FF002B 02065DCB
	v_cndmask_b32_e64 v51, v43, v45, s[48:49]                  // 00000000A234: D1000033 00C25B2B
	v_perm_b32 v201, v51, v50, s52                             // 00000000A23C: D1ED00C9 00D26533
	v_cmp_u_f32_e64 s[48:49], v204, v204                       // 00000000A244: D0480030 000399CC
	v_add3_u32 v43, v204, v46, 1                               // 00000000A24C: D1FF002B 02065DCC
	v_cndmask_b32_e64 v50, v43, v45, s[48:49]                  // 00000000A254: D1000032 00C25B2B
	v_cmp_u_f32_e64 s[48:49], v205, v205                       // 00000000A25C: D0480030 00039BCD
	v_add3_u32 v43, v205, v46, 1                               // 00000000A264: D1FF002B 02065DCD
	v_cndmask_b32_e64 v51, v43, v45, s[48:49]                  // 00000000A26C: D1000033 00C25B2B
	v_perm_b32 v202, v51, v50, s52                             // 00000000A274: D1ED00CA 00D26533
	v_cmp_u_f32_e64 s[48:49], v206, v206                       // 00000000A27C: D0480030 00039DCE
	v_add3_u32 v43, v206, v46, 1                               // 00000000A284: D1FF002B 02065DCE
	v_cndmask_b32_e64 v50, v43, v45, s[48:49]                  // 00000000A28C: D1000032 00C25B2B
	v_cmp_u_f32_e64 s[48:49], v207, v207                       // 00000000A294: D0480030 00039FCF
	v_add3_u32 v43, v207, v46, 1                               // 00000000A29C: D1FF002B 02065DCF
	v_cndmask_b32_e64 v51, v43, v45, s[48:49]                  // 00000000A2A4: D1000033 00C25B2B
	v_perm_b32 v203, v51, v50, s52                             // 00000000A2AC: D1ED00CB 00D26533
	v_cmp_u_f32_e64 s[48:49], v208, v208                       // 00000000A2B4: D0480030 0003A1D0
	v_add3_u32 v43, v208, v46, 1                               // 00000000A2BC: D1FF002B 02065DD0
	v_cndmask_b32_e64 v50, v43, v45, s[48:49]                  // 00000000A2C4: D1000032 00C25B2B
	v_cmp_u_f32_e64 s[48:49], v209, v209                       // 00000000A2CC: D0480030 0003A3D1
	v_add3_u32 v43, v209, v46, 1                               // 00000000A2D4: D1FF002B 02065DD1
	v_cndmask_b32_e64 v51, v43, v45, s[48:49]                  // 00000000A2DC: D1000033 00C25B2B
	v_perm_b32 v204, v51, v50, s52                             // 00000000A2E4: D1ED00CC 00D26533
	v_cmp_u_f32_e64 s[48:49], v210, v210                       // 00000000A2EC: D0480030 0003A5D2
	v_add3_u32 v43, v210, v46, 1                               // 00000000A2F4: D1FF002B 02065DD2
	v_cndmask_b32_e64 v50, v43, v45, s[48:49]                  // 00000000A2FC: D1000032 00C25B2B
	v_cmp_u_f32_e64 s[48:49], v211, v211                       // 00000000A304: D0480030 0003A7D3
	v_add3_u32 v43, v211, v46, 1                               // 00000000A30C: D1FF002B 02065DD3
	v_cndmask_b32_e64 v51, v43, v45, s[48:49]                  // 00000000A314: D1000033 00C25B2B
	v_perm_b32 v205, v51, v50, s52                             // 00000000A31C: D1ED00CD 00D26533
	v_cmp_u_f32_e64 s[48:49], v212, v212                       // 00000000A324: D0480030 0003A9D4
	v_add3_u32 v43, v212, v46, 1                               // 00000000A32C: D1FF002B 02065DD4
	v_cndmask_b32_e64 v50, v43, v45, s[48:49]                  // 00000000A334: D1000032 00C25B2B
	v_cmp_u_f32_e64 s[48:49], v213, v213                       // 00000000A33C: D0480030 0003ABD5
	v_add3_u32 v43, v213, v46, 1                               // 00000000A344: D1FF002B 02065DD5
	v_cndmask_b32_e64 v51, v43, v45, s[48:49]                  // 00000000A34C: D1000033 00C25B2B
	v_perm_b32 v206, v51, v50, s52                             // 00000000A354: D1ED00CE 00D26533
	v_cmp_u_f32_e64 s[48:49], v214, v214                       // 00000000A35C: D0480030 0003ADD6
	v_add3_u32 v43, v214, v46, 1                               // 00000000A364: D1FF002B 02065DD6
	v_cndmask_b32_e64 v50, v43, v45, s[48:49]                  // 00000000A36C: D1000032 00C25B2B
	v_cmp_u_f32_e64 s[48:49], v215, v215                       // 00000000A374: D0480030 0003AFD7
	v_add3_u32 v43, v215, v46, 1                               // 00000000A37C: D1FF002B 02065DD7
	v_cndmask_b32_e64 v51, v43, v45, s[48:49]                  // 00000000A384: D1000033 00C25B2B
	v_perm_b32 v207, v51, v50, s52                             // 00000000A38C: D1ED00CF 00D26533
	v_cmp_u_f32_e64 s[48:49], v216, v216                       // 00000000A394: D0480030 0003B1D8
	v_add3_u32 v43, v216, v46, 1                               // 00000000A39C: D1FF002B 02065DD8
	v_cndmask_b32_e64 v50, v43, v45, s[48:49]                  // 00000000A3A4: D1000032 00C25B2B
	v_cmp_u_f32_e64 s[48:49], v217, v217                       // 00000000A3AC: D0480030 0003B3D9
	v_add3_u32 v43, v217, v46, 1                               // 00000000A3B4: D1FF002B 02065DD9
	v_cndmask_b32_e64 v51, v43, v45, s[48:49]                  // 00000000A3BC: D1000033 00C25B2B
	v_perm_b32 v208, v51, v50, s52                             // 00000000A3C4: D1ED00D0 00D26533
	v_cmp_u_f32_e64 s[48:49], v218, v218                       // 00000000A3CC: D0480030 0003B5DA
	v_add3_u32 v43, v218, v46, 1                               // 00000000A3D4: D1FF002B 02065DDA
	v_cndmask_b32_e64 v50, v43, v45, s[48:49]                  // 00000000A3DC: D1000032 00C25B2B
	v_cmp_u_f32_e64 s[48:49], v219, v219                       // 00000000A3E4: D0480030 0003B7DB
	v_add3_u32 v43, v219, v46, 1                               // 00000000A3EC: D1FF002B 02065DDB
	v_cndmask_b32_e64 v51, v43, v45, s[48:49]                  // 00000000A3F4: D1000033 00C25B2B
	v_perm_b32 v209, v51, v50, s52                             // 00000000A3FC: D1ED00D1 00D26533
	v_cmp_u_f32_e64 s[48:49], v220, v220                       // 00000000A404: D0480030 0003B9DC
	v_add3_u32 v43, v220, v46, 1                               // 00000000A40C: D1FF002B 02065DDC
	v_cndmask_b32_e64 v50, v43, v45, s[48:49]                  // 00000000A414: D1000032 00C25B2B
	v_cmp_u_f32_e64 s[48:49], v221, v221                       // 00000000A41C: D0480030 0003BBDD
	v_add3_u32 v43, v221, v46, 1                               // 00000000A424: D1FF002B 02065DDD
	v_cndmask_b32_e64 v51, v43, v45, s[48:49]                  // 00000000A42C: D1000033 00C25B2B
	v_perm_b32 v210, v51, v50, s52                             // 00000000A434: D1ED00D2 00D26533
	v_cmp_u_f32_e64 s[48:49], v222, v222                       // 00000000A43C: D0480030 0003BDDE
	v_add3_u32 v43, v222, v46, 1                               // 00000000A444: D1FF002B 02065DDE
	v_cndmask_b32_e64 v50, v43, v45, s[48:49]                  // 00000000A44C: D1000032 00C25B2B
	v_cmp_u_f32_e64 s[48:49], v223, v223                       // 00000000A454: D0480030 0003BFDF
	v_add3_u32 v43, v223, v46, 1                               // 00000000A45C: D1FF002B 02065DDF
	v_cndmask_b32_e64 v51, v43, v45, s[48:49]                  // 00000000A464: D1000033 00C25B2B
	v_perm_b32 v211, v51, v50, s52                             // 00000000A46C: D1ED00D3 00D26533
	v_cmp_u_f32_e64 s[48:49], v224, v224                       // 00000000A474: D0480030 0003C1E0
	v_add3_u32 v43, v224, v46, 1                               // 00000000A47C: D1FF002B 02065DE0
	v_cndmask_b32_e64 v50, v43, v45, s[48:49]                  // 00000000A484: D1000032 00C25B2B
	v_cmp_u_f32_e64 s[48:49], v225, v225                       // 00000000A48C: D0480030 0003C3E1
	v_add3_u32 v43, v225, v46, 1                               // 00000000A494: D1FF002B 02065DE1
	v_cndmask_b32_e64 v51, v43, v45, s[48:49]                  // 00000000A49C: D1000033 00C25B2B
	v_perm_b32 v212, v51, v50, s52                             // 00000000A4A4: D1ED00D4 00D26533
	v_cmp_u_f32_e64 s[48:49], v226, v226                       // 00000000A4AC: D0480030 0003C5E2
	v_add3_u32 v43, v226, v46, 1                               // 00000000A4B4: D1FF002B 02065DE2
	v_cndmask_b32_e64 v50, v43, v45, s[48:49]                  // 00000000A4BC: D1000032 00C25B2B
	v_cmp_u_f32_e64 s[48:49], v227, v227                       // 00000000A4C4: D0480030 0003C7E3
	v_add3_u32 v43, v227, v46, 1                               // 00000000A4CC: D1FF002B 02065DE3
	v_cndmask_b32_e64 v51, v43, v45, s[48:49]                  // 00000000A4D4: D1000033 00C25B2B
	v_perm_b32 v213, v51, v50, s52                             // 00000000A4DC: D1ED00D5 00D26533
	v_cmp_u_f32_e64 s[48:49], v228, v228                       // 00000000A4E4: D0480030 0003C9E4
	v_add3_u32 v43, v228, v46, 1                               // 00000000A4EC: D1FF002B 02065DE4
	v_cndmask_b32_e64 v50, v43, v45, s[48:49]                  // 00000000A4F4: D1000032 00C25B2B
	v_cmp_u_f32_e64 s[48:49], v229, v229                       // 00000000A4FC: D0480030 0003CBE5
	v_add3_u32 v43, v229, v46, 1                               // 00000000A504: D1FF002B 02065DE5
	v_cndmask_b32_e64 v51, v43, v45, s[48:49]                  // 00000000A50C: D1000033 00C25B2B
	v_perm_b32 v214, v51, v50, s52                             // 00000000A514: D1ED00D6 00D26533
	v_cmp_u_f32_e64 s[48:49], v230, v230                       // 00000000A51C: D0480030 0003CDE6
	v_add3_u32 v43, v230, v46, 1                               // 00000000A524: D1FF002B 02065DE6
	v_cndmask_b32_e64 v50, v43, v45, s[48:49]                  // 00000000A52C: D1000032 00C25B2B
	v_cmp_u_f32_e64 s[48:49], v231, v231                       // 00000000A534: D0480030 0003CFE7
	v_add3_u32 v43, v231, v46, 1                               // 00000000A53C: D1FF002B 02065DE7
	v_cndmask_b32_e64 v51, v43, v45, s[48:49]                  // 00000000A544: D1000033 00C25B2B
	v_perm_b32 v215, v51, v50, s52                             // 00000000A54C: D1ED00D7 00D26533
	ds_write_b64 v3, v[200:201] offset:28928                   // 00000000A554: D89A7100 0000C803
	ds_write_b64 v3, v[202:203] offset:37632                   // 00000000A55C: D89A9300 0000CA03
	ds_write_b64 v3, v[204:205] offset:31104                   // 00000000A564: D89A7980 0000CC03
	ds_write_b64 v3, v[206:207] offset:39808                   // 00000000A56C: D89A9B80 0000CE03
	ds_write_b64 v3, v[208:209] offset:33280                   // 00000000A574: D89A8200 0000D003
	ds_write_b64 v3, v[210:211] offset:41984                   // 00000000A57C: D89AA400 0000D203
	ds_write_b64 v3, v[212:213] offset:35456                   // 00000000A584: D89A8A80 0000D403
	ds_write_b64 v3, v[214:215] offset:44160                   // 00000000A58C: D89AAC80 0000D603
	s_waitcnt lgkmcnt(0)                                       // 00000000A594: BF8CC07F
	s_barrier                                                  // 00000000A598: BF8A0000
	ds_read_b32 v64, v4 offset:28928                           // 00000000A59C: D86C7100 40000004
	ds_read_b32 v65, v4 offset:33280                           // 00000000A5A4: D86C8200 41000004
	ds_read_b32 v66, v4 offset:28960                           // 00000000A5AC: D86C7120 42000004
	ds_read_b32 v67, v4 offset:33312                           // 00000000A5B4: D86C8220 43000004
	ds_read_b32 v68, v4 offset:28992                           // 00000000A5BC: D86C7140 44000004
	ds_read_b32 v69, v4 offset:33344                           // 00000000A5C4: D86C8240 45000004
	ds_read_b32 v70, v4 offset:29024                           // 00000000A5CC: D86C7160 46000004
	ds_read_b32 v71, v4 offset:33376                           // 00000000A5D4: D86C8260 47000004
	ds_read_b32 v72, v4 offset:37632                           // 00000000A5DC: D86C9300 48000004
	ds_read_b32 v73, v4 offset:41984                           // 00000000A5E4: D86CA400 49000004
	ds_read_b32 v74, v4 offset:37664                           // 00000000A5EC: D86C9320 4A000004
	ds_read_b32 v75, v4 offset:42016                           // 00000000A5F4: D86CA420 4B000004
	ds_read_b32 v76, v4 offset:37696                           // 00000000A5FC: D86C9340 4C000004
	ds_read_b32 v77, v4 offset:42048                           // 00000000A604: D86CA440 4D000004
	ds_read_b32 v78, v4 offset:37728                           // 00000000A60C: D86C9360 4E000004
	ds_read_b32 v79, v4 offset:42080                           // 00000000A614: D86CA460 4F000004
	s_waitcnt lgkmcnt(0)                                       // 00000000A61C: BF8CC07F
	s_mov_b64 exec, s[20:21]                                   // 00000000A620: BEFE0114
	global_atomic_pk_add_bf16 v80, v64, s[8:9]                 // 00000000A624: DD488000 00084050
	s_mov_b64 exec, s[36:37]                                   // 00000000A62C: BEFE0124
	s_mov_b64 exec, s[20:21]                                   // 00000000A630: BEFE0114
	global_atomic_pk_add_bf16 v80, v65, s[8:9] offset:256      // 00000000A634: DD488100 00084150
	s_mov_b64 exec, s[36:37]                                   // 00000000A63C: BEFE0124
	s_mov_b64 exec, s[22:23]                                   // 00000000A640: BEFE0116
	global_atomic_pk_add_bf16 v82, v66, s[8:9]                 // 00000000A644: DD488000 00084252
	s_mov_b64 exec, s[36:37]                                   // 00000000A64C: BEFE0124
	s_mov_b64 exec, s[22:23]                                   // 00000000A650: BEFE0116
	global_atomic_pk_add_bf16 v82, v67, s[8:9] offset:256      // 00000000A654: DD488100 00084352
	s_mov_b64 exec, s[36:37]                                   // 00000000A65C: BEFE0124
	s_mov_b64 exec, s[24:25]                                   // 00000000A660: BEFE0118
	global_atomic_pk_add_bf16 v84, v68, s[8:9]                 // 00000000A664: DD488000 00084454
	s_mov_b64 exec, s[36:37]                                   // 00000000A66C: BEFE0124
	s_mov_b64 exec, s[24:25]                                   // 00000000A670: BEFE0118
	global_atomic_pk_add_bf16 v84, v69, s[8:9] offset:256      // 00000000A674: DD488100 00084554
	s_mov_b64 exec, s[36:37]                                   // 00000000A67C: BEFE0124
	s_mov_b64 exec, s[26:27]                                   // 00000000A680: BEFE011A
	global_atomic_pk_add_bf16 v86, v70, s[8:9]                 // 00000000A684: DD488000 00084656
	s_mov_b64 exec, s[36:37]                                   // 00000000A68C: BEFE0124
	s_mov_b64 exec, s[26:27]                                   // 00000000A690: BEFE011A
	global_atomic_pk_add_bf16 v86, v71, s[8:9] offset:256      // 00000000A694: DD488100 00084756
	s_mov_b64 exec, s[36:37]                                   // 00000000A69C: BEFE0124
	s_mov_b64 exec, s[28:29]                                   // 00000000A6A0: BEFE011C
	global_atomic_pk_add_bf16 v88, v72, s[8:9]                 // 00000000A6A4: DD488000 00084858
	s_mov_b64 exec, s[36:37]                                   // 00000000A6AC: BEFE0124
	s_mov_b64 exec, s[28:29]                                   // 00000000A6B0: BEFE011C
	global_atomic_pk_add_bf16 v88, v73, s[8:9] offset:256      // 00000000A6B4: DD488100 00084958
	s_mov_b64 exec, s[36:37]                                   // 00000000A6BC: BEFE0124
	s_mov_b64 exec, s[30:31]                                   // 00000000A6C0: BEFE011E
	global_atomic_pk_add_bf16 v90, v74, s[8:9]                 // 00000000A6C4: DD488000 00084A5A
	s_mov_b64 exec, s[36:37]                                   // 00000000A6CC: BEFE0124
	s_mov_b64 exec, s[30:31]                                   // 00000000A6D0: BEFE011E
	global_atomic_pk_add_bf16 v90, v75, s[8:9] offset:256      // 00000000A6D4: DD488100 00084B5A
	s_mov_b64 exec, s[36:37]                                   // 00000000A6DC: BEFE0124
	s_mov_b64 exec, s[32:33]                                   // 00000000A6E0: BEFE0120
	global_atomic_pk_add_bf16 v92, v76, s[8:9]                 // 00000000A6E4: DD488000 00084C5C
	s_mov_b64 exec, s[36:37]                                   // 00000000A6EC: BEFE0124
	s_mov_b64 exec, s[32:33]                                   // 00000000A6F0: BEFE0120
	global_atomic_pk_add_bf16 v92, v77, s[8:9] offset:256      // 00000000A6F4: DD488100 00084D5C
	s_mov_b64 exec, s[36:37]                                   // 00000000A6FC: BEFE0124
	s_mov_b64 exec, s[34:35]                                   // 00000000A700: BEFE0122
	global_atomic_pk_add_bf16 v94, v78, s[8:9]                 // 00000000A704: DD488000 00084E5E
	s_mov_b64 exec, s[36:37]                                   // 00000000A70C: BEFE0124
	s_mov_b64 exec, s[34:35]                                   // 00000000A710: BEFE0122
	global_atomic_pk_add_bf16 v94, v79, s[8:9] offset:256      // 00000000A714: DD488100 00084F5E
	s_mov_b64 exec, s[36:37]                                   // 00000000A71C: BEFE0124
	s_add_u32 s8, s59, s8                                      // 00000000A720: 8008083B
	s_addc_u32 s9, 0, s9                                       // 00000000A724: 82090980
	s_addk_i32 s80, 0x100                                      // 00000000A728: B7500100
	s_cmp_lt_i32 s80, s81                                      // 00000000A72C: BF045150
	s_cbranch_scc0 label_10B4                                  // 00000000A730: BF84F1A7
	s_branch label_1959                                        // 00000000A734: BF82FA4B

000000000000a738 <label_1F0E>:
	s_waitcnt vmcnt(0) expcnt(0) lgkmcnt(0)                    // 00000000A738: BF8C0000
	s_endpgm                                                   // 00000000A73C: BF810000
